;; amdgpu-corpus repo=ROCm/rocFFT kind=compiled arch=gfx950 opt=O3
	.text
	.amdgcn_target "amdgcn-amd-amdhsa--gfx950"
	.amdhsa_code_object_version 6
	.protected	bluestein_single_back_len231_dim1_sp_op_CI_CI ; -- Begin function bluestein_single_back_len231_dim1_sp_op_CI_CI
	.globl	bluestein_single_back_len231_dim1_sp_op_CI_CI
	.p2align	8
	.type	bluestein_single_back_len231_dim1_sp_op_CI_CI,@function
bluestein_single_back_len231_dim1_sp_op_CI_CI: ; @bluestein_single_back_len231_dim1_sp_op_CI_CI
; %bb.0:
	s_load_dwordx4 s[8:11], s[0:1], 0x28
	v_mul_u32_u24_e32 v1, 0x7c2, v0
	v_lshrrev_b32_e32 v2, 16, v1
	v_mad_u64_u32 v[48:49], s[2:3], s2, 7, v[2:3]
	v_mov_b32_e32 v47, 0
	v_mov_b32_e32 v49, v47
	s_waitcnt lgkmcnt(0)
	v_cmp_gt_u64_e32 vcc, s[8:9], v[48:49]
	s_and_saveexec_b64 s[2:3], vcc
	s_cbranch_execz .LBB0_23
; %bb.1:
	v_mul_lo_u16_e32 v1, 33, v2
	s_mov_b32 s4, 0x24924925
	v_sub_u16_e32 v46, v0, v1
	v_mul_hi_u32 v0, v48, s4
	v_sub_u32_e32 v1, v48, v0
	v_lshrrev_b32_e32 v1, 1, v1
	v_add_u32_e32 v0, v1, v0
	s_load_dwordx2 s[2:3], s[0:1], 0x0
	s_load_dwordx2 s[8:9], s[0:1], 0x38
	v_lshrrev_b32_e32 v0, 2, v0
	v_mul_lo_u32 v0, v0, 7
	v_sub_u32_e32 v0, v48, v0
	v_mul_u32_u24_e32 v134, 0xe7, v0
	v_cmp_gt_u16_e32 vcc, 21, v46
	v_lshlrev_b32_e32 v49, 3, v46
	v_lshlrev_b32_e32 v135, 3, v134
	s_and_saveexec_b64 s[12:13], vcc
	s_cbranch_execz .LBB0_3
; %bb.2:
	s_load_dwordx2 s[4:5], s[0:1], 0x18
	v_mov_b32_e32 v0, s10
	v_mov_b32_e32 v1, s11
	;; [unrolled: 1-line block ×3, first 2 shown]
	v_lshl_add_u32 v50, v46, 3, v135
	s_waitcnt lgkmcnt(0)
	s_load_dwordx4 s[4:7], s[4:5], 0x0
	v_add_u32_e32 v51, v135, v49
	s_waitcnt lgkmcnt(0)
	v_mad_u64_u32 v[2:3], s[10:11], s6, v48, 0
	v_mad_u64_u32 v[4:5], s[10:11], s4, v46, 0
	v_mov_b32_e32 v6, v3
	v_mov_b32_e32 v8, v5
	v_mad_u64_u32 v[6:7], s[6:7], s7, v48, v[6:7]
	v_mov_b32_e32 v3, v6
	v_mad_u64_u32 v[6:7], s[6:7], s5, v46, v[8:9]
	v_mov_b32_e32 v5, v6
	v_lshl_add_u64 v[0:1], v[2:3], 3, v[0:1]
	v_lshl_add_u64 v[0:1], v[4:5], 3, v[0:1]
	global_load_dwordx2 v[2:3], v[0:1], off
	v_mad_u64_u32 v[0:1], s[6:7], s4, v42, v[0:1]
	s_mul_i32 s10, s5, 0xa8
	v_add_u32_e32 v1, s10, v1
	global_load_dwordx2 v[4:5], v[0:1], off
	global_load_dwordx2 v[6:7], v49, s[2:3]
	v_mad_u64_u32 v[0:1], s[6:7], s4, v42, v[0:1]
	v_add_u32_e32 v1, s10, v1
	v_mad_u64_u32 v[8:9], s[6:7], s4, v42, v[0:1]
	v_add_u32_e32 v9, s10, v9
	global_load_dwordx2 v[10:11], v49, s[2:3] offset:168
	global_load_dwordx2 v[12:13], v49, s[2:3] offset:336
	;; [unrolled: 1-line block ×3, first 2 shown]
	global_load_dwordx2 v[16:17], v[0:1], off
	v_mad_u64_u32 v[0:1], s[6:7], s4, v42, v[8:9]
	v_add_u32_e32 v1, s10, v1
	global_load_dwordx2 v[18:19], v[8:9], off
	global_load_dwordx2 v[20:21], v[0:1], off
	v_mad_u64_u32 v[0:1], s[6:7], s4, v42, v[0:1]
	v_add_u32_e32 v1, s10, v1
	global_load_dwordx2 v[8:9], v49, s[2:3] offset:672
	global_load_dwordx2 v[22:23], v[0:1], off
	v_mad_u64_u32 v[0:1], s[6:7], s4, v42, v[0:1]
	v_add_u32_e32 v1, s10, v1
	global_load_dwordx2 v[24:25], v49, s[2:3] offset:840
	;; [unrolled: 4-line block ×3, first 2 shown]
	global_load_dwordx2 v[30:31], v[0:1], off
	global_load_dwordx2 v[32:33], v49, s[2:3] offset:1176
	v_mad_u64_u32 v[0:1], s[6:7], s4, v42, v[0:1]
	v_add_u32_e32 v1, s10, v1
	global_load_dwordx2 v[34:35], v[0:1], off
	global_load_dwordx2 v[36:37], v49, s[2:3] offset:1344
	v_mad_u64_u32 v[0:1], s[6:7], s4, v42, v[0:1]
	v_add_u32_e32 v1, s10, v1
	;; [unrolled: 4-line block ×3, first 2 shown]
	global_load_dwordx2 v[42:43], v49, s[2:3] offset:1680
	global_load_dwordx2 v[44:45], v[0:1], off
	s_waitcnt vmcnt(19)
	v_mul_f32_e32 v0, v3, v7
	v_mul_f32_e32 v1, v2, v7
	v_fmac_f32_e32 v0, v2, v6
	v_fma_f32 v1, v3, v6, -v1
	ds_write_b64 v50, v[0:1]
	s_waitcnt vmcnt(18)
	v_mul_f32_e32 v0, v5, v11
	v_mul_f32_e32 v1, v4, v11
	s_waitcnt vmcnt(15)
	v_mul_f32_e32 v2, v17, v13
	v_mul_f32_e32 v3, v16, v13
	v_fmac_f32_e32 v0, v4, v10
	v_fma_f32 v1, v5, v10, -v1
	v_fmac_f32_e32 v2, v16, v12
	v_fma_f32 v3, v17, v12, -v3
	ds_write2_b64 v51, v[0:1], v[2:3] offset0:21 offset1:42
	s_waitcnt vmcnt(14)
	v_mul_f32_e32 v0, v19, v15
	v_mul_f32_e32 v1, v18, v15
	s_waitcnt vmcnt(12)
	v_mul_f32_e32 v2, v21, v9
	v_mul_f32_e32 v3, v20, v9
	v_fmac_f32_e32 v0, v18, v14
	v_fma_f32 v1, v19, v14, -v1
	v_fmac_f32_e32 v2, v20, v8
	v_fma_f32 v3, v21, v8, -v3
	ds_write2_b64 v51, v[0:1], v[2:3] offset0:63 offset1:84
	;; [unrolled: 11-line block ×5, first 2 shown]
.LBB0_3:
	s_or_b64 exec, exec, s[12:13]
	s_load_dwordx2 s[4:5], s[0:1], 0x20
	s_load_dwordx2 s[10:11], s[0:1], 0x8
	v_mov_b64_e32 v[0:1], 0
	s_waitcnt lgkmcnt(0)
	s_barrier
	s_waitcnt lgkmcnt(0)
                                        ; implicit-def: $vgpr4
                                        ; implicit-def: $vgpr10
                                        ; implicit-def: $vgpr16
                                        ; implicit-def: $vgpr14
                                        ; implicit-def: $vgpr22
	s_and_saveexec_b64 s[0:1], vcc
	s_cbranch_execz .LBB0_5
; %bb.4:
	v_lshlrev_b32_e32 v0, 3, v46
	v_lshl_add_u32 v20, v134, 3, v0
	ds_read2_b64 v[0:3], v20 offset1:21
	ds_read2_b64 v[12:15], v20 offset0:42 offset1:63
	ds_read2_b64 v[8:11], v20 offset0:84 offset1:105
	ds_read2_b64 v[4:7], v20 offset0:126 offset1:147
	ds_read2_b64 v[16:19], v20 offset0:168 offset1:189
	ds_read_b64 v[22:23], v20 offset:1680
.LBB0_5:
	s_or_b64 exec, exec, s[0:1]
	s_waitcnt lgkmcnt(0)
	v_pk_add_f32 v[54:55], v[2:3], v[22:23] neg_lo:[0,1] neg_hi:[0,1]
	s_mov_b32 s26, 0xbf0a6770
	v_pk_add_f32 v[30:31], v[22:23], v[2:3]
	v_pk_add_f32 v[56:57], v[12:13], v[18:19] neg_lo:[0,1] neg_hi:[0,1]
	s_mov_b32 s6, 0x3f575c64
	v_pk_mul_f32 v[24:25], v[54:55], s[26:27] op_sel:[1,0] op_sel_hi:[0,0]
	s_mov_b32 s12, 0xbf68dda4
	v_pk_add_f32 v[28:29], v[18:19], v[12:13]
	v_pk_fma_f32 v[42:43], v[30:31], s[6:7], v[24:25] op_sel_hi:[1,0,1]
	v_pk_fma_f32 v[44:45], v[30:31], s[6:7], v[24:25] op_sel_hi:[1,0,1] neg_lo:[0,0,1] neg_hi:[0,0,1]
	s_mov_b32 s0, 0x3ed4b147
	v_pk_mul_f32 v[32:33], v[56:57], s[12:13] op_sel:[1,0] op_sel_hi:[0,0]
	v_mov_b32_e32 v24, v42
	v_mov_b32_e32 v25, v45
	v_pk_fma_f32 v[62:63], v[28:29], s[0:1], v[32:33] op_sel_hi:[1,0,1]
	v_pk_fma_f32 v[64:65], v[28:29], s[0:1], v[32:33] op_sel_hi:[1,0,1] neg_lo:[0,0,1] neg_hi:[0,0,1]
	v_pk_add_f32 v[24:25], v[24:25], v[0:1]
	v_pk_mul_f32 v[26:27], v[54:55], s[12:13] op_sel:[1,0] op_sel_hi:[0,0]
	v_mov_b32_e32 v32, v62
	v_mov_b32_e32 v33, v65
	s_mov_b32 s18, 0xbf4178ce
	v_pk_fma_f32 v[38:39], v[30:31], s[0:1], v[26:27] op_sel_hi:[1,0,1]
	v_pk_fma_f32 v[40:41], v[30:31], s[0:1], v[26:27] op_sel_hi:[1,0,1] neg_lo:[0,0,1] neg_hi:[0,0,1]
	v_pk_add_f32 v[24:25], v[32:33], v[24:25]
	s_mov_b32 s16, 0xbf27a4f4
	v_pk_mul_f32 v[32:33], v[56:57], s[18:19] op_sel:[1,0] op_sel_hi:[0,0]
	v_mov_b32_e32 v26, v38
	v_mov_b32_e32 v27, v41
	v_pk_fma_f32 v[52:53], v[28:29], s[16:17], v[32:33] op_sel_hi:[1,0,1]
	v_pk_fma_f32 v[60:61], v[28:29], s[16:17], v[32:33] op_sel_hi:[1,0,1] neg_lo:[0,0,1] neg_hi:[0,0,1]
	v_pk_add_f32 v[58:59], v[14:15], v[16:17] neg_lo:[0,1] neg_hi:[0,1]
	v_pk_add_f32 v[26:27], v[26:27], v[0:1]
	v_mov_b32_e32 v32, v52
	v_mov_b32_e32 v33, v61
	s_mov_b32 s14, 0xbf7d64f0
	v_pk_add_f32 v[20:21], v[16:17], v[14:15]
	v_pk_add_f32 v[26:27], v[32:33], v[26:27]
	s_mov_b32 s12, 0xbe11bafb
	v_pk_mul_f32 v[32:33], v[58:59], s[14:15] op_sel:[1,0] op_sel_hi:[0,0]
	v_pk_fma_f32 v[70:71], v[20:21], s[12:13], v[32:33] op_sel_hi:[1,0,1]
	v_pk_fma_f32 v[72:73], v[20:21], s[12:13], v[32:33] op_sel_hi:[1,0,1] neg_lo:[0,0,1] neg_hi:[0,0,1]
	v_mov_b32_e32 v32, v70
	v_mov_b32_e32 v33, v73
	s_mov_b32 s24, 0x3e903f40
	v_pk_add_f32 v[24:25], v[32:33], v[24:25]
	s_mov_b32 s20, 0xbf75a155
	v_pk_mul_f32 v[32:33], v[58:59], s[24:25] op_sel:[1,0] op_sel_hi:[0,0]
	v_pk_fma_f32 v[66:67], v[20:21], s[20:21], v[32:33] op_sel_hi:[1,0,1]
	v_pk_fma_f32 v[68:69], v[20:21], s[20:21], v[32:33] op_sel_hi:[1,0,1] neg_lo:[0,0,1] neg_hi:[0,0,1]
	v_mov_b32_e32 v32, v66
	v_mov_b32_e32 v33, v69
	v_pk_add_f32 v[94:95], v[8:9], v[6:7] neg_lo:[0,1] neg_hi:[0,1]
	v_pk_add_f32 v[26:27], v[32:33], v[26:27]
	v_pk_add_f32 v[32:33], v[6:7], v[8:9]
	v_pk_mul_f32 v[34:35], v[94:95], s[18:19] op_sel:[1,0] op_sel_hi:[0,0]
	v_pk_fma_f32 v[78:79], v[32:33], s[16:17], v[34:35] op_sel_hi:[1,0,1]
	v_pk_fma_f32 v[80:81], v[32:33], s[16:17], v[34:35] op_sel_hi:[1,0,1] neg_lo:[0,0,1] neg_hi:[0,0,1]
	v_mov_b32_e32 v34, v78
	v_mov_b32_e32 v35, v81
	s_mov_b32 s28, 0x3f7d64f0
	v_pk_add_f32 v[24:25], v[34:35], v[24:25]
	v_pk_mul_f32 v[34:35], v[94:95], s[28:29] op_sel:[1,0] op_sel_hi:[0,0]
	v_pk_fma_f32 v[74:75], v[32:33], s[12:13], v[34:35] op_sel_hi:[1,0,1]
	v_pk_fma_f32 v[76:77], v[32:33], s[12:13], v[34:35] op_sel_hi:[1,0,1] neg_lo:[0,0,1] neg_hi:[0,0,1]
	v_mov_b32_e32 v34, v74
	v_mov_b32_e32 v35, v77
	s_mov_b32 s22, 0xbe903f40
	v_pk_add_f32 v[116:117], v[10:11], v[4:5] neg_lo:[0,1] neg_hi:[0,1]
	v_pk_add_f32 v[26:27], v[34:35], v[26:27]
	v_pk_add_f32 v[36:37], v[4:5], v[10:11]
	v_pk_mul_f32 v[34:35], v[116:117], s[22:23] op_sel:[1,0] op_sel_hi:[0,0]
	v_pk_fma_f32 v[90:91], v[36:37], s[20:21], v[34:35] op_sel_hi:[1,0,1]
	v_pk_fma_f32 v[92:93], v[36:37], s[20:21], v[34:35] op_sel_hi:[1,0,1] neg_lo:[0,0,1] neg_hi:[0,0,1]
	v_mov_b32_e32 v34, v90
	v_mov_b32_e32 v35, v93
	v_pk_add_f32 v[50:51], v[34:35], v[24:25]
	v_pk_mul_f32 v[24:25], v[54:55], s[14:15] op_sel:[1,0] op_sel_hi:[0,0]
	v_pk_fma_f32 v[82:83], v[30:31], s[12:13], v[24:25] op_sel_hi:[1,0,1]
	v_pk_fma_f32 v[84:85], v[30:31], s[12:13], v[24:25] op_sel_hi:[1,0,1] neg_lo:[0,0,1] neg_hi:[0,0,1]
	v_pk_mul_f32 v[34:35], v[56:57], s[24:25] op_sel:[1,0] op_sel_hi:[0,0]
	v_mov_b32_e32 v24, v82
	v_mov_b32_e32 v25, v85
	v_pk_fma_f32 v[86:87], v[28:29], s[20:21], v[34:35] op_sel_hi:[1,0,1]
	v_pk_fma_f32 v[88:89], v[28:29], s[20:21], v[34:35] op_sel_hi:[1,0,1] neg_lo:[0,0,1] neg_hi:[0,0,1]
	v_mov_b32_e32 v34, v86
	v_mov_b32_e32 v35, v89
	v_pk_add_f32 v[24:25], v[24:25], v[0:1]
	s_mov_b32 s24, 0x3f68dda4
	v_pk_add_f32 v[24:25], v[34:35], v[24:25]
	v_pk_mul_f32 v[34:35], v[58:59], s[24:25] op_sel:[1,0] op_sel_hi:[0,0]
	v_pk_fma_f32 v[96:97], v[20:21], s[0:1], v[34:35] op_sel_hi:[1,0,1]
	v_pk_fma_f32 v[98:99], v[20:21], s[0:1], v[34:35] op_sel_hi:[1,0,1] neg_lo:[0,0,1] neg_hi:[0,0,1]
	v_mov_b32_e32 v34, v96
	v_mov_b32_e32 v35, v99
	v_pk_add_f32 v[24:25], v[34:35], v[24:25]
	v_pk_mul_f32 v[34:35], v[94:95], s[26:27] op_sel:[1,0] op_sel_hi:[0,0]
	v_pk_fma_f32 v[104:105], v[32:33], s[6:7], v[34:35] op_sel_hi:[1,0,1]
	v_pk_fma_f32 v[106:107], v[32:33], s[6:7], v[34:35] op_sel_hi:[1,0,1] neg_lo:[0,0,1] neg_hi:[0,0,1]
	v_mov_b32_e32 v34, v104
	v_mov_b32_e32 v35, v107
	;; [unrolled: 6-line block ×3, first 2 shown]
	v_pk_add_f32 v[24:25], v[34:35], v[24:25]
	v_pk_mul_f32 v[34:35], v[54:55], s[18:19] op_sel:[1,0] op_sel_hi:[0,0]
	v_pk_fma_f32 v[100:101], v[30:31], s[16:17], v[34:35] op_sel_hi:[1,0,1]
	v_pk_fma_f32 v[102:103], v[30:31], s[16:17], v[34:35] op_sel_hi:[1,0,1] neg_lo:[0,0,1] neg_hi:[0,0,1]
	v_pk_mul_f32 v[110:111], v[56:57], s[28:29] op_sel:[1,0] op_sel_hi:[0,0]
	v_mov_b32_e32 v34, v100
	v_mov_b32_e32 v35, v103
	v_pk_fma_f32 v[108:109], v[28:29], s[12:13], v[110:111] op_sel_hi:[1,0,1]
	v_pk_fma_f32 v[110:111], v[28:29], s[12:13], v[110:111] op_sel_hi:[1,0,1] neg_lo:[0,0,1] neg_hi:[0,0,1]
	v_mov_b32_e32 v118, v108
	v_mov_b32_e32 v119, v111
	v_pk_add_f32 v[34:35], v[34:35], v[0:1]
	v_pk_mul_f32 v[120:121], v[58:59], s[26:27] op_sel:[1,0] op_sel_hi:[0,0]
	v_pk_add_f32 v[34:35], v[118:119], v[34:35]
	v_pk_fma_f32 v[118:119], v[20:21], s[6:7], v[120:121] op_sel_hi:[1,0,1]
	v_pk_fma_f32 v[120:121], v[20:21], s[6:7], v[120:121] op_sel_hi:[1,0,1] neg_lo:[0,0,1] neg_hi:[0,0,1]
	v_mov_b32_e32 v122, v118
	v_mov_b32_e32 v123, v121
	v_pk_mul_f32 v[124:125], v[94:95], s[22:23] op_sel:[1,0] op_sel_hi:[0,0]
	v_pk_add_f32 v[34:35], v[122:123], v[34:35]
	v_pk_fma_f32 v[122:123], v[32:33], s[20:21], v[124:125] op_sel_hi:[1,0,1]
	v_pk_fma_f32 v[124:125], v[32:33], s[20:21], v[124:125] op_sel_hi:[1,0,1] neg_lo:[0,0,1] neg_hi:[0,0,1]
	v_mov_b32_e32 v126, v122
	v_mov_b32_e32 v127, v125
	s_mov_b32 s28, 0x3f0a6770
	v_pk_add_f32 v[34:35], v[126:127], v[34:35]
	v_pk_mul_f32 v[126:127], v[116:117], s[28:29] op_sel:[1,0] op_sel_hi:[0,0]
	v_pk_fma_f32 v[130:131], v[36:37], s[6:7], v[126:127] op_sel_hi:[1,0,1]
	v_pk_fma_f32 v[132:133], v[36:37], s[6:7], v[126:127] op_sel_hi:[1,0,1] neg_lo:[0,0,1] neg_hi:[0,0,1]
	v_mov_b32_e32 v126, v130
	v_mov_b32_e32 v127, v133
	v_pk_mul_f32 v[128:129], v[116:117], s[24:25] op_sel:[1,0] op_sel_hi:[0,0]
	v_pk_add_f32 v[26:27], v[126:127], v[26:27]
	v_pk_fma_f32 v[126:127], v[36:37], s[0:1], v[128:129] op_sel_hi:[1,0,1]
	v_pk_fma_f32 v[128:129], v[36:37], s[0:1], v[128:129] op_sel_hi:[1,0,1] neg_lo:[0,0,1] neg_hi:[0,0,1]
	v_mov_b32_e32 v136, v126
	v_mov_b32_e32 v137, v129
	v_pk_add_f32 v[34:35], v[136:137], v[34:35]
	s_barrier
	s_and_saveexec_b64 s[26:27], vcc
	s_cbranch_execz .LBB0_7
; %bb.6:
	v_pk_add_f32 v[2:3], v[2:3], v[0:1]
	v_mov_b32_e32 v45, v43
	v_pk_add_f32 v[2:3], v[12:13], v[2:3]
	v_mov_b32_e32 v65, v63
	v_pk_add_f32 v[2:3], v[14:15], v[2:3]
	v_mul_lo_u16_e32 v14, 11, v46
	v_pk_add_f32 v[2:3], v[8:9], v[2:3]
	v_add_lshl_u32 v38, v134, v14, 3
	v_pk_add_f32 v[2:3], v[10:11], v[2:3]
	v_pk_add_f32 v[14:15], v[44:45], v[0:1]
	;; [unrolled: 1-line block ×5, first 2 shown]
	v_mov_b32_e32 v73, v71
	v_pk_add_f32 v[2:3], v[16:17], v[2:3]
	v_pk_add_f32 v[14:15], v[72:73], v[14:15]
	v_mov_b32_e32 v81, v79
	v_pk_add_f32 v[2:3], v[18:19], v[2:3]
	v_pk_add_f32 v[14:15], v[80:81], v[14:15]
	;; [unrolled: 3-line block ×3, first 2 shown]
	v_mov_b32_e32 v41, v39
	v_mov_b32_e32 v85, v83
	ds_write2_b64 v38, v[2:3], v[14:15] offset1:1
	v_pk_add_f32 v[2:3], v[40:41], v[0:1]
	v_mov_b32_e32 v61, v53
	v_pk_add_f32 v[14:15], v[84:85], v[0:1]
	v_mov_b32_e32 v89, v87
	;; [unrolled: 2-line block ×6, first 2 shown]
	v_mov_b32_e32 v4, v55
	v_mov_b32_e32 v5, v54
	v_pk_add_f32 v[2:3], v[76:77], v[2:3]
	v_mov_b32_e32 v133, v131
	v_pk_add_f32 v[14:15], v[106:107], v[14:15]
	v_mov_b32_e32 v115, v113
	v_mov_b32_e32 v6, v57
	;; [unrolled: 1-line block ×3, first 2 shown]
	v_pk_add_f32 v[2:3], v[132:133], v[2:3]
	v_pk_add_f32 v[14:15], v[114:115], v[14:15]
	v_pk_mul_f32 v[4:5], v[4:5], s[22:23] op_sel_hi:[1,0]
	ds_write2_b64 v38, v[2:3], v[14:15] offset0:2 offset1:3
	v_pk_fma_f32 v[14:15], v[30:31], s[20:21], v[4:5] op_sel_hi:[1,0,1] neg_lo:[0,0,1] neg_hi:[0,0,1]
	v_pk_fma_f32 v[4:5], v[30:31], s[20:21], v[4:5] op_sel_hi:[1,0,1]
	v_pk_mul_f32 v[6:7], v[6:7], s[28:29] op_sel_hi:[1,0]
	v_mov_b32_e32 v8, v59
	v_mov_b32_e32 v9, v58
	;; [unrolled: 1-line block ×4, first 2 shown]
	v_pk_fma_f32 v[18:19], v[28:29], s[6:7], v[6:7] op_sel_hi:[1,0,1] neg_lo:[0,0,1] neg_hi:[0,0,1]
	v_pk_fma_f32 v[6:7], v[28:29], s[6:7], v[6:7] op_sel_hi:[1,0,1]
	v_pk_add_f32 v[16:17], v[16:17], v[0:1]
	v_mov_b32_e32 v22, v18
	v_mov_b32_e32 v23, v7
	v_pk_mul_f32 v[8:9], v[8:9], s[18:19] op_sel_hi:[1,0]
	v_mov_b32_e32 v10, v95
	v_mov_b32_e32 v11, v94
	v_pk_add_f32 v[16:17], v[22:23], v[16:17]
	v_pk_fma_f32 v[22:23], v[20:21], s[16:17], v[8:9] op_sel_hi:[1,0,1] neg_lo:[0,0,1] neg_hi:[0,0,1]
	v_pk_fma_f32 v[8:9], v[20:21], s[16:17], v[8:9] op_sel_hi:[1,0,1]
	v_mov_b32_e32 v103, v101
	v_mov_b32_e32 v20, v22
	;; [unrolled: 1-line block ×3, first 2 shown]
	v_pk_mul_f32 v[10:11], v[10:11], s[24:25] op_sel_hi:[1,0]
	v_mov_b32_e32 v5, v15
	v_mov_b32_e32 v12, v117
	v_mov_b32_e32 v13, v116
	v_pk_add_f32 v[2:3], v[102:103], v[0:1]
	v_mov_b32_e32 v111, v109
	v_pk_add_f32 v[16:17], v[20:21], v[16:17]
	v_pk_fma_f32 v[20:21], v[32:33], s[0:1], v[10:11] op_sel_hi:[1,0,1] neg_lo:[0,0,1] neg_hi:[0,0,1]
	v_pk_fma_f32 v[10:11], v[32:33], s[0:1], v[10:11] op_sel_hi:[1,0,1]
	v_pk_add_f32 v[0:1], v[4:5], v[0:1]
	v_mov_b32_e32 v7, v19
	v_pk_add_f32 v[2:3], v[110:111], v[2:3]
	v_mov_b32_e32 v121, v119
	v_mov_b32_e32 v28, v20
	v_mov_b32_e32 v29, v11
	v_pk_mul_f32 v[12:13], v[12:13], s[14:15] op_sel_hi:[1,0]
	v_pk_add_f32 v[0:1], v[6:7], v[0:1]
	v_mov_b32_e32 v9, v23
	v_pk_add_f32 v[2:3], v[120:121], v[2:3]
	v_mov_b32_e32 v125, v123
	v_pk_add_f32 v[16:17], v[28:29], v[16:17]
	v_pk_fma_f32 v[28:29], v[36:37], s[12:13], v[12:13] op_sel_hi:[1,0,1] neg_lo:[0,0,1] neg_hi:[0,0,1]
	v_pk_fma_f32 v[12:13], v[36:37], s[12:13], v[12:13] op_sel_hi:[1,0,1]
	v_pk_add_f32 v[0:1], v[8:9], v[0:1]
	v_mov_b32_e32 v11, v21
	v_pk_add_f32 v[2:3], v[124:125], v[2:3]
	v_mov_b32_e32 v129, v127
	v_mov_b32_e32 v30, v28
	;; [unrolled: 1-line block ×3, first 2 shown]
	v_pk_add_f32 v[0:1], v[10:11], v[0:1]
	v_mov_b32_e32 v13, v29
	v_pk_add_f32 v[2:3], v[128:129], v[2:3]
	v_pk_add_f32 v[16:17], v[30:31], v[16:17]
	;; [unrolled: 1-line block ×3, first 2 shown]
	ds_write2_b64 v38, v[2:3], v[16:17] offset0:4 offset1:5
	ds_write2_b64 v38, v[0:1], v[34:35] offset0:6 offset1:7
	;; [unrolled: 1-line block ×3, first 2 shown]
	ds_write_b64 v38, v[50:51] offset:80
.LBB0_7:
	s_or_b64 exec, exec, s[26:27]
	s_movk_i32 s0, 0x75
	v_mul_lo_u16_sdwa v0, v46, s0 dst_sel:DWORD dst_unused:UNUSED_PAD src0_sel:BYTE_0 src1_sel:DWORD
	v_sub_u16_sdwa v1, v46, v0 dst_sel:DWORD dst_unused:UNUSED_PAD src0_sel:DWORD src1_sel:BYTE_1
	v_lshrrev_b16_e32 v1, 1, v1
	v_and_b32_e32 v1, 0x7f, v1
	v_add_u16_sdwa v0, v1, v0 dst_sel:DWORD dst_unused:UNUSED_PAD src0_sel:DWORD src1_sel:BYTE_1
	v_lshrrev_b16_e32 v30, 3, v0
	v_mul_lo_u16_e32 v0, 11, v30
	v_sub_u16_e32 v31, v46, v0
	v_mov_b32_e32 v0, 6
	v_mul_u32_u24_sdwa v0, v31, v0 dst_sel:DWORD dst_unused:UNUSED_PAD src0_sel:BYTE_0 src1_sel:DWORD
	v_lshlrev_b32_e32 v12, 3, v0
	s_load_dwordx4 s[4:7], s[4:5], 0x0
	s_waitcnt lgkmcnt(0)
	s_barrier
	global_load_dwordx4 v[8:11], v12, s[10:11]
	global_load_dwordx4 v[0:3], v12, s[10:11] offset:32
	global_load_dwordx4 v[4:7], v12, s[10:11] offset:16
	v_add_lshl_u32 v116, v134, v46, 3
	ds_read2_b64 v[12:15], v116 offset1:33
	ds_read2_b64 v[16:19], v116 offset0:66 offset1:99
	ds_read2_b64 v[20:23], v116 offset0:132 offset1:165
	ds_read_b64 v[28:29], v116 offset:1584
	v_mul_u32_u24_e32 v30, 0x4d, v30
	v_add_u32_sdwa v30, v30, v31 dst_sel:DWORD dst_unused:UNUSED_PAD src0_sel:DWORD src1_sel:BYTE_0
	v_add_lshl_u32 v117, v134, v30, 3
	s_mov_b32 s18, 0x3d64c772
	s_mov_b32 s19, 0x3f4a47b2
	;; [unrolled: 1-line block ×8, first 2 shown]
	s_waitcnt lgkmcnt(0)
	s_barrier
	s_waitcnt vmcnt(2)
	v_pk_mul_f32 v[30:31], v[14:15], v[8:9] op_sel:[0,1]
	v_mov_b32_e32 v32, v11
	s_waitcnt vmcnt(1)
	v_pk_mul_f32 v[36:37], v[22:23], v[0:1] op_sel:[0,1]
	v_mov_b32_e32 v38, v3
	;; [unrolled: 3-line block ×3, first 2 shown]
	v_pk_fma_f32 v[44:45], v[14:15], v[8:9], v[30:31] op_sel:[0,0,1] op_sel_hi:[1,1,0] neg_lo:[0,0,1] neg_hi:[0,0,1]
	v_pk_fma_f32 v[14:15], v[14:15], v[8:9], v[30:31] op_sel:[0,0,1] op_sel_hi:[1,0,0]
	v_pk_mul_f32 v[30:31], v[16:17], v[32:33] op_sel_hi:[1,0]
	v_pk_fma_f32 v[32:33], v[22:23], v[0:1], v[36:37] op_sel:[0,0,1] op_sel_hi:[1,0,0] neg_lo:[0,0,1] neg_hi:[0,0,1]
	v_pk_fma_f32 v[22:23], v[22:23], v[0:1], v[36:37] op_sel:[0,0,1] op_sel_hi:[1,0,0]
	v_pk_mul_f32 v[36:37], v[28:29], v[38:39] op_sel_hi:[1,0]
	;; [unrolled: 3-line block ×3, first 2 shown]
	v_mov_b32_e32 v45, v15
	v_pk_fma_f32 v[14:15], v[16:17], v[10:11], v[30:31] op_sel:[0,0,1] op_sel_hi:[1,1,0] neg_lo:[0,0,1] neg_hi:[0,0,1]
	v_pk_fma_f32 v[16:17], v[16:17], v[10:11], v[30:31] op_sel:[0,0,1] op_sel_hi:[1,0,0]
	v_mov_b32_e32 v33, v23
	v_pk_fma_f32 v[22:23], v[28:29], v[2:3], v[36:37] op_sel:[0,0,1] op_sel_hi:[1,1,0] neg_lo:[0,0,1] neg_hi:[0,0,1]
	v_pk_fma_f32 v[28:29], v[28:29], v[2:3], v[36:37] op_sel:[0,0,1] op_sel_hi:[1,0,0]
	;; [unrolled: 3-line block ×3, first 2 shown]
	v_mov_b32_e32 v15, v17
	v_mov_b32_e32 v23, v29
	;; [unrolled: 1-line block ×3, first 2 shown]
	v_pk_add_f32 v[16:17], v[44:45], v[22:23]
	v_pk_add_f32 v[20:21], v[44:45], v[22:23] neg_lo:[0,1] neg_hi:[0,1]
	v_pk_add_f32 v[22:23], v[14:15], v[32:33]
	v_pk_add_f32 v[28:29], v[38:39], v[18:19]
	v_pk_add_f32 v[14:15], v[14:15], v[32:33] neg_lo:[0,1] neg_hi:[0,1]
	v_pk_add_f32 v[18:19], v[18:19], v[38:39] neg_lo:[0,1] neg_hi:[0,1]
	v_mov_b32_e32 v38, v28
	v_mov_b32_e32 v39, v17
	;; [unrolled: 1-line block ×4, first 2 shown]
	v_pk_add_f32 v[36:37], v[14:15], v[20:21] op_sel:[1,1] op_sel_hi:[0,0] neg_lo:[0,1] neg_hi:[0,1]
	v_pk_add_f32 v[42:43], v[18:19], v[14:15] op_sel:[1,1] op_sel_hi:[0,0]
	v_mov_b32_e32 v44, v19
	v_mov_b32_e32 v52, v15
	;; [unrolled: 1-line block ×6, first 2 shown]
	v_pk_add_f32 v[14:15], v[38:39], v[40:41] neg_lo:[0,1] neg_hi:[0,1]
	v_pk_add_f32 v[30:31], v[22:23], v[16:17] neg_lo:[0,1] neg_hi:[0,1]
	v_pk_mul_f32 v[14:15], v[14:15], s[18:19]
	s_mov_b32 s18, 0x3eae86e6
	v_pk_add_f32 v[32:33], v[22:23], v[16:17]
	v_mov_b32_e32 v17, v29
	v_mov_b32_e32 v22, v28
	;; [unrolled: 1-line block ×4, first 2 shown]
	s_mov_b32 s19, 0xbf08b237
	v_pk_add_f32 v[16:17], v[16:17], v[22:23] neg_lo:[0,1] neg_hi:[0,1]
	v_pk_add_f32 v[22:23], v[44:45], v[52:53] neg_lo:[0,1] neg_hi:[0,1]
	;; [unrolled: 1-line block ×3, first 2 shown]
	s_mov_b32 s22, s19
	s_mov_b32 s23, s18
	v_pk_add_f32 v[28:29], v[28:29], v[32:33]
	v_pk_mul_f32 v[38:39], v[16:17], s[20:21]
	v_pk_mul_f32 v[40:41], v[18:19], s[18:19]
	;; [unrolled: 1-line block ×3, first 2 shown]
	v_pk_add_f32 v[20:21], v[42:43], v[20:21] op_sel:[0,1] op_sel_hi:[1,0]
	v_pk_add_f32 v[12:13], v[12:13], v[28:29]
	v_mov_b32_e32 v32, v38
	v_mov_b32_e32 v33, v15
	;; [unrolled: 1-line block ×4, first 2 shown]
	v_pk_fma_f32 v[28:29], v[28:29], s[16:17], v[12:13] op_sel_hi:[1,0,1]
	v_pk_fma_f32 v[16:17], v[16:17], s[20:21], v[14:15]
	v_pk_fma_f32 v[32:33], v[30:31], s[12:13], v[32:33] op_sel_hi:[1,0,1] neg_lo:[1,0,1] neg_hi:[1,0,1]
	v_pk_fma_f32 v[18:19], v[18:19], s[18:19], v[22:23]
	v_pk_fma_f32 v[42:43], v[36:37], s[0:1], v[42:43] op_sel_hi:[1,0,1] neg_lo:[1,0,1] neg_hi:[1,0,1]
	v_pk_add_f32 v[16:17], v[16:17], v[28:29]
	v_pk_add_f32 v[32:33], v[32:33], v[28:29]
	v_pk_fma_f32 v[18:19], v[20:21], s[14:15], v[18:19] op_sel_hi:[1,0,1]
	v_pk_fma_f32 v[42:43], v[20:21], s[14:15], v[42:43] op_sel_hi:[1,0,1]
	v_pk_add_f32 v[44:45], v[16:17], v[18:19]
	v_pk_add_f32 v[52:53], v[32:33], v[42:43]
	v_pk_add_f32 v[42:43], v[32:33], v[42:43] neg_lo:[0,1] neg_hi:[0,1]
	v_pk_add_f32 v[32:33], v[16:17], v[18:19] neg_lo:[0,1] neg_hi:[0,1]
	v_mov_b32_e32 v16, v44
	v_mov_b32_e32 v17, v33
	;; [unrolled: 1-line block ×4, first 2 shown]
	ds_write2_b64 v117, v[12:13], v[16:17] offset1:11
	v_pk_fma_f32 v[14:15], v[30:31], s[12:13], v[14:15] op_sel_hi:[1,0,1] neg_lo:[0,0,1] neg_hi:[0,0,1]
	v_pk_fma_f32 v[16:17], v[36:37], s[0:1], v[22:23] op_sel_hi:[1,0,1] neg_lo:[0,0,1] neg_hi:[0,0,1]
	v_pk_add_f32 v[14:15], v[14:15], v[28:29]
	v_pk_fma_f32 v[16:17], v[20:21], s[14:15], v[16:17] op_sel_hi:[1,0,1]
	v_mov_b32_e32 v12, v52
	v_pk_add_f32 v[18:19], v[14:15], v[16:17] neg_lo:[0,1] neg_hi:[0,1]
	v_pk_add_f32 v[14:15], v[14:15], v[16:17]
	v_mov_b32_e32 v13, v43
	v_mov_b32_e32 v16, v18
	;; [unrolled: 1-line block ×6, first 2 shown]
	ds_write2_b64 v117, v[12:13], v[16:17] offset0:22 offset1:33
	ds_write2_b64 v117, v[14:15], v[42:43] offset0:44 offset1:55
	ds_write_b64 v117, v[32:33] offset:528
	s_waitcnt lgkmcnt(0)
	s_barrier
	ds_read2_b64 v[36:39], v116 offset1:33
	ds_read2_b64 v[40:43], v116 offset0:77 offset1:110
	ds_read2_b64 v[28:31], v116 offset0:154 offset1:187
	v_cmp_gt_u16_e64 s[0:1], 11, v46
	s_and_saveexec_b64 s[12:13], s[0:1]
	s_cbranch_execz .LBB0_9
; %bb.8:
	ds_read2_b64 v[32:35], v116 offset0:66 offset1:143
	ds_read_b64 v[24:25], v116 offset:1760
	s_waitcnt lgkmcnt(1)
	v_mov_b32_e32 v45, v33
.LBB0_9:
	s_or_b64 exec, exec, s[12:13]
	v_lshlrev_b32_e32 v12, 4, v46
	global_load_dwordx4 v[20:23], v12, s[10:11] offset:528
	v_add_u32_e32 v12, 0x210, v12
	s_mov_b64 s[12:13], 0x42
	global_load_dwordx4 v[16:19], v12, s[10:11] offset:528
	v_lshl_add_u64 v[12:13], v[46:47], 0, -11
	v_lshl_add_u64 v[14:15], v[46:47], 0, s[12:13]
	v_cndmask_b32_e64 v13, v13, v15, s[0:1]
	v_cndmask_b32_e64 v12, v12, v14, s[0:1]
	v_lshl_add_u64 v[12:13], v[12:13], 4, s[10:11]
	global_load_dwordx4 v[12:15], v[12:13], off offset:528
	v_mov_b32_e32 v33, v45
	s_mov_b32 s10, 0x3f5db3d7
	v_lshl_add_u32 v47, v46, 3, v135
	v_add_u32_e32 v118, v49, v135
	s_waitcnt vmcnt(2) lgkmcnt(1)
	v_pk_mul_f32 v[44:45], v[40:41], v[20:21] op_sel:[0,1]
	v_mov_b32_e32 v52, v23
	v_pk_fma_f32 v[62:63], v[40:41], v[20:21], v[44:45] op_sel:[0,0,1] op_sel_hi:[1,1,0] neg_lo:[0,0,1] neg_hi:[0,0,1]
	s_waitcnt vmcnt(1)
	v_mov_b32_e32 v54, v17
	v_pk_mul_f32 v[56:57], v[42:43], v[16:17] op_sel:[1,0] op_sel_hi:[0,1]
	v_mov_b32_e32 v58, v19
	s_waitcnt lgkmcnt(0)
	v_pk_mul_f32 v[60:61], v[30:31], v[18:19] op_sel:[1,0] op_sel_hi:[0,1]
	v_pk_fma_f32 v[40:41], v[40:41], v[20:21], v[44:45] op_sel:[0,0,1] op_sel_hi:[1,0,0]
	v_pk_mul_f32 v[44:45], v[28:29], v[52:53] op_sel_hi:[1,0]
	v_pk_mul_f32 v[52:53], v[42:43], v[54:55] op_sel:[1,0] op_sel_hi:[0,1]
	v_mov_b32_e32 v55, v56
	v_pk_mul_f32 v[56:57], v[30:31], v[58:59] op_sel:[1,0] op_sel_hi:[0,1]
	v_mov_b32_e32 v59, v60
	v_mov_b32_e32 v63, v41
	v_pk_fma_f32 v[40:41], v[28:29], v[22:23], v[44:45] op_sel:[0,0,1] op_sel_hi:[1,1,0] neg_lo:[0,0,1] neg_hi:[0,0,1]
	v_pk_fma_f32 v[28:29], v[28:29], v[22:23], v[44:45] op_sel:[0,0,1] op_sel_hi:[1,0,0]
	v_pk_fma_f32 v[44:45], v[42:43], v[16:17], v[52:53] neg_lo:[0,0,1] neg_hi:[0,0,1]
	v_pk_fma_f32 v[42:43], v[42:43], v[16:17], v[54:55] op_sel:[1,0,0] op_sel_hi:[0,1,1]
	v_pk_fma_f32 v[52:53], v[30:31], v[18:19], v[56:57] neg_lo:[0,0,1] neg_hi:[0,0,1]
	v_pk_fma_f32 v[30:31], v[30:31], v[18:19], v[58:59] op_sel:[1,0,0] op_sel_hi:[0,1,1]
	v_mov_b32_e32 v41, v29
	v_pk_add_f32 v[28:29], v[36:37], v[62:63]
	s_waitcnt vmcnt(0)
	v_pk_mul_f32 v[54:55], v[34:35], v[12:13] op_sel:[1,0]
	v_pk_mul_f32 v[56:57], v[24:25], v[14:15] op_sel:[1,0]
	v_pk_add_f32 v[28:29], v[28:29], v[40:41]
	v_pk_add_f32 v[58:59], v[62:63], v[40:41]
	v_pk_add_f32 v[40:41], v[62:63], v[40:41] neg_lo:[0,1] neg_hi:[0,1]
	v_pk_fma_f32 v[60:61], v[34:35], v[12:13], v[54:55] op_sel:[0,0,1] op_sel_hi:[1,1,0] neg_lo:[0,0,1] neg_hi:[0,0,1]
	v_pk_fma_f32 v[34:35], v[34:35], v[12:13], v[54:55] op_sel:[0,0,1] op_sel_hi:[0,1,0]
	v_pk_fma_f32 v[54:55], v[24:25], v[14:15], v[56:57] op_sel:[0,0,1] op_sel_hi:[1,1,0] neg_lo:[0,0,1] neg_hi:[0,0,1]
	v_pk_fma_f32 v[24:25], v[24:25], v[14:15], v[56:57] op_sel:[0,0,1] op_sel_hi:[0,1,0]
	v_mov_b32_e32 v45, v43
	v_mov_b32_e32 v53, v31
	v_pk_fma_f32 v[30:31], v[58:59], 0.5, v[36:37] op_sel_hi:[1,0,1] neg_lo:[1,0,0] neg_hi:[1,0,0]
	v_pk_mul_f32 v[36:37], v[40:41], s[10:11] op_sel_hi:[1,0]
	v_mov_b32_e32 v61, v35
	v_mov_b32_e32 v55, v25
	v_pk_add_f32 v[24:25], v[38:39], v[44:45]
	v_pk_add_f32 v[40:41], v[44:45], v[52:53]
	v_pk_add_f32 v[42:43], v[44:45], v[52:53] neg_lo:[0,1] neg_hi:[0,1]
	v_pk_add_f32 v[44:45], v[30:31], v[36:37] op_sel:[0,1] op_sel_hi:[1,0]
	v_pk_add_f32 v[34:35], v[30:31], v[36:37] op_sel:[0,1] op_sel_hi:[1,0] neg_lo:[0,1] neg_hi:[0,1]
	v_pk_add_f32 v[36:37], v[24:25], v[52:53]
	v_pk_fma_f32 v[24:25], v[40:41], 0.5, v[38:39] op_sel_hi:[1,0,1] neg_lo:[1,0,0] neg_hi:[1,0,0]
	v_pk_mul_f32 v[38:39], v[42:43], s[10:11] op_sel_hi:[1,0]
	v_pk_add_f32 v[52:53], v[60:61], v[54:55]
	v_pk_add_f32 v[56:57], v[60:61], v[54:55] neg_lo:[0,1] neg_hi:[0,1]
	v_pk_add_f32 v[42:43], v[32:33], v[60:61]
	v_pk_add_f32 v[58:59], v[24:25], v[38:39] op_sel:[0,1] op_sel_hi:[1,0]
	v_pk_add_f32 v[40:41], v[24:25], v[38:39] op_sel:[0,1] op_sel_hi:[1,0] neg_lo:[0,1] neg_hi:[0,1]
	v_pk_fma_f32 v[24:25], v[52:53], 0.5, v[32:33] op_sel_hi:[1,0,1] neg_lo:[1,0,0] neg_hi:[1,0,0]
	v_pk_mul_f32 v[32:33], v[56:57], s[10:11] op_sel_hi:[1,0]
	v_mov_b32_e32 v30, v44
	v_pk_add_f32 v[52:53], v[24:25], v[32:33] op_sel:[0,1] op_sel_hi:[1,0]
	v_pk_add_f32 v[24:25], v[24:25], v[32:33] op_sel:[0,1] op_sel_hi:[1,0] neg_lo:[0,1] neg_hi:[0,1]
	v_mov_b32_e32 v31, v35
	v_pk_add_f32 v[42:43], v[42:43], v[54:55]
	v_mov_b32_e32 v35, v45
	v_mov_b32_e32 v38, v58
	;; [unrolled: 1-line block ×7, first 2 shown]
	ds_write2_b64 v47, v[28:29], v[36:37] offset1:33
	ds_write2_b64 v47, v[30:31], v[34:35] offset0:77 offset1:154
	ds_write2_b64 v118, v[38:39], v[40:41] offset0:110 offset1:187
	s_and_saveexec_b64 s[10:11], s[0:1]
	s_cbranch_execz .LBB0_11
; %bb.10:
	ds_write2_b64 v47, v[42:43], v[44:45] offset0:66 offset1:143
	ds_write_b64 v47, v[24:25] offset:1760
.LBB0_11:
	s_or_b64 exec, exec, s[10:11]
	s_waitcnt lgkmcnt(0)
	s_barrier
	s_and_saveexec_b64 s[10:11], vcc
	s_cbranch_execz .LBB0_13
; %bb.12:
	global_load_dwordx2 v[32:33], v49, s[2:3] offset:1848
	s_add_u32 s12, s2, 0x738
	s_addc_u32 s13, s3, 0
	global_load_dwordx2 v[72:73], v49, s[12:13] offset:168
	global_load_dwordx2 v[74:75], v49, s[12:13] offset:336
	;; [unrolled: 1-line block ×10, first 2 shown]
	ds_read2_b64 v[52:55], v47 offset1:21
	ds_read2_b64 v[56:59], v47 offset0:42 offset1:63
	ds_read2_b64 v[60:63], v47 offset0:84 offset1:105
	;; [unrolled: 1-line block ×4, first 2 shown]
	ds_read_b64 v[92:93], v47 offset:1680
	s_waitcnt vmcnt(7) lgkmcnt(4)
	v_mul_f32_e32 v96, v59, v77
	s_waitcnt vmcnt(6) lgkmcnt(3)
	v_mul_f32_e32 v97, v61, v79
	s_waitcnt vmcnt(5)
	v_mul_f32_e32 v98, v63, v81
	s_waitcnt vmcnt(4) lgkmcnt(2)
	v_mul_f32_e32 v99, v65, v83
	v_mul_f32_e32 v94, v53, v33
	;; [unrolled: 1-line block ×3, first 2 shown]
	v_fma_f32 v94, v52, v32, -v94
	v_fmac_f32_e32 v95, v53, v32
	v_mul_f32_e32 v32, v55, v73
	v_mul_f32_e32 v33, v54, v73
	;; [unrolled: 1-line block ×8, first 2 shown]
	s_waitcnt vmcnt(3)
	v_mul_f32_e32 v100, v67, v85
	v_mul_f32_e32 v81, v66, v85
	s_waitcnt vmcnt(2) lgkmcnt(1)
	v_mul_f32_e32 v101, v69, v87
	v_mul_f32_e32 v83, v68, v87
	s_waitcnt vmcnt(1)
	v_mul_f32_e32 v102, v71, v89
	v_mul_f32_e32 v85, v70, v89
	s_waitcnt vmcnt(0) lgkmcnt(0)
	v_mul_f32_e32 v89, v93, v91
	v_mul_f32_e32 v87, v92, v91
	v_fma_f32 v32, v54, v72, -v32
	v_fmac_f32_e32 v33, v55, v72
	v_fma_f32 v52, v56, v74, -v52
	v_fmac_f32_e32 v53, v57, v74
	;; [unrolled: 2-line block ×10, first 2 shown]
	ds_write2_b64 v47, v[94:95], v[32:33] offset1:21
	ds_write2_b64 v47, v[52:53], v[72:73] offset0:42 offset1:63
	ds_write2_b64 v47, v[74:75], v[76:77] offset0:84 offset1:105
	;; [unrolled: 1-line block ×4, first 2 shown]
	ds_write_b64 v47, v[86:87] offset:1680
.LBB0_13:
	s_or_b64 exec, exec, s[10:11]
	v_mov_b32_e32 v54, v7
	v_mov_b32_e32 v55, v0
	s_waitcnt lgkmcnt(0)
	s_barrier
	s_and_saveexec_b64 s[10:11], vcc
	s_cbranch_execz .LBB0_15
; %bb.14:
	ds_read2_b64 v[28:31], v47 offset1:21
	ds_read2_b64 v[34:37], v47 offset0:42 offset1:63
	ds_read2_b64 v[38:41], v47 offset0:84 offset1:105
	;; [unrolled: 1-line block ×4, first 2 shown]
	ds_read_b64 v[50:51], v47 offset:1680
.LBB0_15:
	s_or_b64 exec, exec, s[10:11]
	s_waitcnt lgkmcnt(0)
	v_pk_add_f32 v[32:33], v[30:31], v[50:51] neg_lo:[0,1] neg_hi:[0,1]
	v_pk_add_f32 v[74:75], v[30:31], v[50:51]
	v_mov_b32_e32 v57, v32
	v_mov_b32_e32 v56, v74
	;; [unrolled: 1-line block ×3, first 2 shown]
	v_pk_add_f32 v[32:33], v[34:35], v[26:27] neg_lo:[0,1] neg_hi:[0,1]
	v_pk_add_f32 v[72:73], v[34:35], v[26:27]
	v_mov_b32_e32 v59, v32
	v_mov_b32_e32 v58, v72
	;; [unrolled: 1-line block ×3, first 2 shown]
	v_pk_add_f32 v[32:33], v[36:37], v[24:25] neg_lo:[0,1] neg_hi:[0,1]
	v_pk_add_f32 v[70:71], v[36:37], v[24:25]
	s_mov_b32 s18, 0xbf7d64f0
	v_mov_b32_e32 v60, v70
	v_mov_b32_e32 v61, v32
	;; [unrolled: 1-line block ×3, first 2 shown]
	v_pk_add_f32 v[32:33], v[38:39], v[44:45] neg_lo:[0,1] neg_hi:[0,1]
	v_pk_add_f32 v[68:69], v[38:39], v[44:45]
	s_mov_b32 s19, 0xbe11bafb
	s_mov_b32 s40, 0x3e903f40
	v_mov_b32_e32 v62, v68
	v_mov_b32_e32 v63, v32
	;; [unrolled: 1-line block ×3, first 2 shown]
	v_pk_add_f32 v[32:33], v[40:41], v[42:43] neg_lo:[0,1] neg_hi:[0,1]
	v_pk_add_f32 v[66:67], v[40:41], v[42:43]
	v_pk_mul_f32 v[78:79], v[74:75], s[18:19]
	s_mov_b32 s10, s19
	s_mov_b32 s11, s18
	;; [unrolled: 1-line block ×3, first 2 shown]
	v_mov_b32_e32 v64, v66
	v_mov_b32_e32 v65, v32
	;; [unrolled: 1-line block ×3, first 2 shown]
	v_pk_fma_f32 v[32:33], v[56:57], s[10:11], v[78:79] neg_lo:[0,0,1] neg_hi:[0,0,1]
	v_pk_fma_f32 v[76:77], v[56:57], s[10:11], v[78:79]
	v_pk_mul_f32 v[82:83], v[72:73], s[40:41]
	s_mov_b32 s12, s41
	s_mov_b32 s13, s40
	;; [unrolled: 1-line block ×3, first 2 shown]
	v_mov_b32_e32 v33, v77
	v_pk_fma_f32 v[52:53], v[58:59], s[12:13], v[82:83] neg_lo:[0,0,1] neg_hi:[0,0,1]
	v_pk_fma_f32 v[80:81], v[58:59], s[12:13], v[82:83]
	s_mov_b32 s29, 0x3ed4b147
	v_pk_add_f32 v[32:33], v[28:29], v[32:33]
	v_mov_b32_e32 v53, v81
	v_pk_mul_f32 v[86:87], v[70:71], s[28:29]
	s_mov_b32 s22, s29
	s_mov_b32 s23, s28
	v_pk_add_f32 v[32:33], v[52:53], v[32:33]
	v_pk_fma_f32 v[52:53], v[60:61], s[22:23], v[86:87] neg_lo:[0,0,1] neg_hi:[0,0,1]
	v_pk_fma_f32 v[84:85], v[60:61], s[22:23], v[86:87]
	s_mov_b32 s31, 0x3f575c64
	s_mov_b32 s30, 0xbf0a6770
	v_mov_b32_e32 v53, v85
	v_pk_mul_f32 v[88:89], v[68:69], s[30:31]
	s_mov_b32 s14, s31
	s_mov_b32 s15, s30
	;; [unrolled: 1-line block ×3, first 2 shown]
	v_pk_add_f32 v[32:33], v[52:53], v[32:33]
	v_pk_fma_f32 v[52:53], v[62:63], s[14:15], v[88:89] neg_lo:[0,0,1] neg_hi:[0,0,1]
	v_pk_fma_f32 v[90:91], v[62:63], s[14:15], v[88:89]
	s_mov_b32 s35, 0xbf27a4f4
	v_mov_b32_e32 v53, v91
	v_pk_mul_f32 v[96:97], v[66:67], s[34:35]
	s_mov_b32 s16, s35
	s_mov_b32 s17, s34
	v_pk_add_f32 v[32:33], v[52:53], v[32:33]
	v_pk_fma_f32 v[52:53], v[64:65], s[16:17], v[96:97] neg_lo:[0,0,1] neg_hi:[0,0,1]
	v_pk_fma_f32 v[98:99], v[64:65], s[16:17], v[96:97]
	v_pk_mul_f32 v[94:95], v[74:75], s[34:35]
	v_mov_b32_e32 v53, v99
	s_mov_b32 s42, 0x3f7d64f0
	s_mov_b32 s43, s19
	v_pk_add_f32 v[52:53], v[52:53], v[32:33]
	v_pk_fma_f32 v[32:33], v[56:57], s[16:17], v[94:95] neg_lo:[0,0,1] neg_hi:[0,0,1]
	v_pk_fma_f32 v[92:93], v[56:57], s[16:17], v[94:95]
	v_pk_mul_f32 v[100:101], v[72:73], s[42:43]
	s_mov_b32 s26, s19
	s_mov_b32 s27, s42
	v_mov_b32_e32 v33, v93
	v_pk_fma_f32 v[104:105], v[58:59], s[26:27], v[100:101] neg_lo:[0,0,1] neg_hi:[0,0,1]
	v_pk_fma_f32 v[102:103], v[58:59], s[26:27], v[100:101]
	v_pk_add_f32 v[32:33], v[28:29], v[32:33]
	v_mov_b32_e32 v105, v103
	v_pk_mul_f32 v[106:107], v[70:71], s[30:31]
	v_pk_add_f32 v[32:33], v[104:105], v[32:33]
	v_pk_fma_f32 v[108:109], v[60:61], s[14:15], v[106:107] neg_lo:[0,0,1] neg_hi:[0,0,1]
	v_pk_fma_f32 v[104:105], v[60:61], s[14:15], v[106:107]
	s_mov_b32 s38, 0xbe903f40
	v_mov_b32_e32 v109, v105
	s_mov_b32 s39, s41
	v_pk_add_f32 v[32:33], v[108:109], v[32:33]
	v_pk_mul_f32 v[108:109], v[68:69], s[38:39]
	s_mov_b32 s20, s41
	s_mov_b32 s21, s38
	v_pk_fma_f32 v[112:113], v[62:63], s[20:21], v[108:109] neg_lo:[0,0,1] neg_hi:[0,0,1]
	v_pk_fma_f32 v[110:111], v[62:63], s[20:21], v[108:109]
	v_pk_mul_f32 v[114:115], v[66:67], s[28:29]
	v_mov_b32_e32 v113, v111
	v_pk_add_f32 v[32:33], v[112:113], v[32:33]
	v_pk_fma_f32 v[120:121], v[64:65], s[22:23], v[114:115] neg_lo:[0,0,1] neg_hi:[0,0,1]
	v_pk_fma_f32 v[112:113], v[64:65], s[22:23], v[114:115]
	s_nop 0
	v_mov_b32_e32 v121, v113
	v_pk_add_f32 v[32:33], v[120:121], v[32:33]
	s_barrier
	s_and_saveexec_b64 s[24:25], vcc
	s_cbranch_execz .LBB0_17
; %bb.16:
	v_pk_add_f32 v[30:31], v[30:31], v[28:29]
	s_mov_b32 s37, 0xbf68dda4
	v_pk_add_f32 v[30:31], v[34:35], v[30:31]
	s_mov_b32 s44, s37
	;; [unrolled: 2-line block ×4, first 2 shown]
	v_pk_add_f32 v[30:31], v[40:41], v[30:31]
	v_pk_mul_f32 v[36:37], v[72:73], s[44:45]
	v_pk_add_f32 v[30:31], v[42:43], v[30:31]
	v_pk_fma_f32 v[38:39], v[58:59], s[36:37], v[36:37]
	v_pk_add_f32 v[30:31], v[44:45], v[30:31]
	v_pk_fma_f32 v[40:41], v[58:59], s[36:37], v[36:37] neg_lo:[1,0,0] neg_hi:[1,0,0]
	v_pk_add_f32 v[24:25], v[24:25], v[30:31]
	v_mov_b32_e32 v40, v38
	v_pk_add_f32 v[24:25], v[26:27], v[24:25]
	v_pk_mul_f32 v[26:27], v[74:75], s[30:31]
	v_pk_add_f32 v[24:25], v[50:51], v[24:25]
	v_pk_fma_f32 v[30:31], v[56:57], s[14:15], v[26:27]
	v_pk_fma_f32 v[34:35], v[56:57], s[14:15], v[26:27] neg_lo:[1,0,0] neg_hi:[1,0,0]
	v_mul_lo_u16_e32 v0, 11, v46
	v_mov_b32_e32 v34, v30
	v_pk_add_f32 v[34:35], v[28:29], v[34:35]
	v_lshl_add_u32 v0, v0, 3, v135
	v_pk_add_f32 v[34:35], v[40:41], v[34:35]
	v_pk_mul_f32 v[40:41], v[70:71], s[18:19]
	v_pk_mul_f32 v[126:127], v[72:73], s[34:35]
	v_pk_fma_f32 v[42:43], v[60:61], s[10:11], v[40:41]
	v_pk_fma_f32 v[44:45], v[60:61], s[10:11], v[40:41] neg_lo:[1,0,0] neg_hi:[1,0,0]
	v_pk_fma_f32 v[128:129], v[58:59], s[16:17], v[126:127]
	v_mov_b32_e32 v44, v42
	v_pk_add_f32 v[34:35], v[44:45], v[34:35]
	v_pk_mul_f32 v[44:45], v[68:69], s[34:35]
	v_pk_fma_f32 v[130:131], v[58:59], s[16:17], v[126:127] neg_lo:[1,0,0] neg_hi:[1,0,0]
	v_pk_fma_f32 v[50:51], v[62:63], s[16:17], v[44:45]
	v_pk_fma_f32 v[120:121], v[62:63], s[16:17], v[44:45] neg_lo:[1,0,0] neg_hi:[1,0,0]
	v_mov_b32_e32 v130, v128
	v_mov_b32_e32 v120, v50
	v_pk_add_f32 v[34:35], v[120:121], v[34:35]
	v_pk_mul_f32 v[120:121], v[66:67], s[38:39]
	s_nop 0
	v_pk_fma_f32 v[122:123], v[64:65], s[20:21], v[120:121]
	v_pk_fma_f32 v[124:125], v[64:65], s[20:21], v[120:121] neg_lo:[1,0,0] neg_hi:[1,0,0]
	s_nop 0
	v_mov_b32_e32 v124, v122
	v_pk_add_f32 v[34:35], v[124:125], v[34:35]
	ds_write2_b64 v0, v[24:25], v[34:35] offset1:1
	v_pk_mul_f32 v[24:25], v[74:75], s[44:45]
	v_pk_mul_f32 v[74:75], v[74:75], s[38:39]
	v_pk_fma_f32 v[34:35], v[56:57], s[36:37], v[24:25]
	v_pk_fma_f32 v[124:125], v[56:57], s[36:37], v[24:25] neg_lo:[1,0,0] neg_hi:[1,0,0]
	v_pk_fma_f32 v[24:25], v[56:57], s[36:37], v[24:25] neg_lo:[0,0,1] neg_hi:[0,0,1]
	v_mov_b32_e32 v124, v34
	v_pk_add_f32 v[124:125], v[28:29], v[124:125]
	v_mov_b32_e32 v25, v35
	v_pk_add_f32 v[124:125], v[130:131], v[124:125]
	v_pk_mul_f32 v[130:131], v[70:71], s[40:41]
	s_mov_b32 s41, 0x3f0a6770
	v_pk_fma_f32 v[132:133], v[60:61], s[12:13], v[130:131]
	v_pk_fma_f32 v[136:137], v[60:61], s[12:13], v[130:131] neg_lo:[1,0,0] neg_hi:[1,0,0]
	s_mov_b32 s30, s41
	v_mov_b32_e32 v136, v132
	v_pk_add_f32 v[124:125], v[136:137], v[124:125]
	v_pk_mul_f32 v[136:137], v[68:69], s[42:43]
	s_mov_b32 s40, s31
	v_pk_fma_f32 v[138:139], v[62:63], s[26:27], v[136:137]
	v_pk_fma_f32 v[140:141], v[62:63], s[26:27], v[136:137] neg_lo:[1,0,0] neg_hi:[1,0,0]
	v_pk_fma_f32 v[34:35], v[58:59], s[16:17], v[126:127] neg_lo:[0,0,1] neg_hi:[0,0,1]
	v_mov_b32_e32 v140, v138
	v_pk_add_f32 v[124:125], v[140:141], v[124:125]
	v_pk_mul_f32 v[140:141], v[66:67], s[30:31]
	v_pk_add_f32 v[24:25], v[28:29], v[24:25]
	v_pk_fma_f32 v[142:143], v[64:65], s[40:41], v[140:141]
	v_pk_fma_f32 v[144:145], v[64:65], s[40:41], v[140:141] neg_lo:[1,0,0] neg_hi:[1,0,0]
	v_mov_b32_e32 v35, v129
	v_mov_b32_e32 v144, v142
	v_pk_add_f32 v[124:125], v[144:145], v[124:125]
	v_pk_mul_f32 v[144:145], v[56:57], s[10:11]
	v_pk_add_f32 v[24:25], v[34:35], v[24:25]
	v_pk_add_f32 v[78:79], v[78:79], v[144:145] neg_lo:[0,1] neg_hi:[0,1]
	v_pk_mul_f32 v[144:145], v[58:59], s[12:13]
	v_mov_b32_e32 v77, v79
	v_pk_mul_f32 v[78:79], v[60:61], s[22:23]
	v_pk_add_f32 v[82:83], v[82:83], v[144:145] neg_lo:[0,1] neg_hi:[0,1]
	v_pk_fma_f32 v[34:35], v[60:61], s[12:13], v[130:131] neg_lo:[0,0,1] neg_hi:[0,0,1]
	v_pk_mul_f32 v[144:145], v[62:63], s[14:15]
	v_mov_b32_e32 v81, v83
	v_pk_add_f32 v[76:77], v[28:29], v[76:77]
	v_pk_add_f32 v[78:79], v[86:87], v[78:79] neg_lo:[0,1] neg_hi:[0,1]
	v_mov_b32_e32 v35, v133
	v_pk_mul_f32 v[82:83], v[64:65], s[16:17]
	v_pk_add_f32 v[76:77], v[80:81], v[76:77]
	v_mov_b32_e32 v85, v79
	v_pk_add_f32 v[88:89], v[88:89], v[144:145] neg_lo:[0,1] neg_hi:[0,1]
	v_pk_add_f32 v[24:25], v[34:35], v[24:25]
	v_pk_fma_f32 v[34:35], v[62:63], s[26:27], v[136:137] neg_lo:[0,0,1] neg_hi:[0,0,1]
	v_pk_mul_f32 v[78:79], v[60:61], s[14:15]
	v_pk_add_f32 v[76:77], v[84:85], v[76:77]
	v_mov_b32_e32 v91, v89
	v_pk_add_f32 v[82:83], v[96:97], v[82:83] neg_lo:[0,1] neg_hi:[0,1]
	v_mov_b32_e32 v35, v139
	v_pk_mul_f32 v[84:85], v[62:63], s[20:21]
	v_pk_add_f32 v[76:77], v[90:91], v[76:77]
	v_mov_b32_e32 v99, v83
	v_pk_add_f32 v[78:79], v[106:107], v[78:79] neg_lo:[0,1] neg_hi:[0,1]
	v_pk_add_f32 v[24:25], v[34:35], v[24:25]
	v_pk_fma_f32 v[34:35], v[64:65], s[40:41], v[140:141] neg_lo:[0,0,1] neg_hi:[0,0,1]
	v_pk_mul_f32 v[80:81], v[56:57], s[16:17]
	v_pk_mul_f32 v[86:87], v[58:59], s[26:27]
	;; [unrolled: 1-line block ×3, first 2 shown]
	v_pk_add_f32 v[76:77], v[98:99], v[76:77]
	v_mov_b32_e32 v105, v79
	v_pk_add_f32 v[78:79], v[108:109], v[84:85] neg_lo:[0,1] neg_hi:[0,1]
	v_mov_b32_e32 v35, v143
	ds_write2_b64 v0, v[124:125], v[76:77] offset0:2 offset1:3
	v_pk_add_f32 v[76:77], v[94:95], v[80:81] neg_lo:[0,1] neg_hi:[0,1]
	v_pk_add_f32 v[80:81], v[100:101], v[86:87] neg_lo:[0,1] neg_hi:[0,1]
	v_mov_b32_e32 v111, v79
	v_pk_add_f32 v[78:79], v[114:115], v[144:145] neg_lo:[0,1] neg_hi:[0,1]
	v_pk_add_f32 v[24:25], v[34:35], v[24:25]
	v_mov_b32_e32 v103, v81
	v_mov_b32_e32 v113, v79
	v_pk_fma_f32 v[78:79], v[56:57], s[20:21], v[74:75]
	v_pk_fma_f32 v[80:81], v[56:57], s[20:21], v[74:75] neg_lo:[1,0,0] neg_hi:[1,0,0]
	v_pk_mul_f32 v[72:73], v[72:73], s[30:31]
	ds_write2_b64 v0, v[52:53], v[24:25] offset0:8 offset1:9
	v_pk_fma_f32 v[24:25], v[56:57], s[14:15], v[26:27] neg_lo:[0,0,1] neg_hi:[0,0,1]
	v_mov_b32_e32 v80, v78
	v_pk_fma_f32 v[82:83], v[58:59], s[40:41], v[72:73]
	v_pk_fma_f32 v[84:85], v[58:59], s[40:41], v[72:73] neg_lo:[1,0,0] neg_hi:[1,0,0]
	v_mov_b32_e32 v25, v31
	v_pk_fma_f32 v[26:27], v[58:59], s[36:37], v[36:37] neg_lo:[0,0,1] neg_hi:[0,0,1]
	v_pk_add_f32 v[80:81], v[28:29], v[80:81]
	v_mov_b32_e32 v84, v82
	v_pk_mul_f32 v[70:71], v[70:71], s[34:35]
	v_pk_add_f32 v[24:25], v[28:29], v[24:25]
	v_mov_b32_e32 v27, v39
	v_pk_add_f32 v[80:81], v[84:85], v[80:81]
	v_pk_fma_f32 v[84:85], v[60:61], s[16:17], v[70:71]
	v_pk_fma_f32 v[86:87], v[60:61], s[16:17], v[70:71] neg_lo:[1,0,0] neg_hi:[1,0,0]
	v_pk_fma_f32 v[74:75], v[56:57], s[20:21], v[74:75] neg_lo:[0,0,1] neg_hi:[0,0,1]
	v_pk_add_f32 v[24:25], v[26:27], v[24:25]
	v_pk_fma_f32 v[26:27], v[60:61], s[10:11], v[40:41] neg_lo:[0,0,1] neg_hi:[0,0,1]
	v_mov_b32_e32 v93, v77
	v_mov_b32_e32 v86, v84
	v_pk_mul_f32 v[68:69], v[68:69], s[28:29]
	v_mov_b32_e32 v75, v79
	v_pk_fma_f32 v[72:73], v[58:59], s[40:41], v[72:73] neg_lo:[0,0,1] neg_hi:[0,0,1]
	v_mov_b32_e32 v27, v43
	v_pk_add_f32 v[76:77], v[28:29], v[92:93]
	v_pk_add_f32 v[80:81], v[86:87], v[80:81]
	v_pk_fma_f32 v[86:87], v[62:63], s[22:23], v[68:69]
	v_pk_fma_f32 v[88:89], v[62:63], s[22:23], v[68:69] neg_lo:[1,0,0] neg_hi:[1,0,0]
	v_pk_add_f32 v[74:75], v[28:29], v[74:75]
	v_mov_b32_e32 v73, v83
	v_pk_fma_f32 v[70:71], v[60:61], s[16:17], v[70:71] neg_lo:[0,0,1] neg_hi:[0,0,1]
	v_pk_add_f32 v[24:25], v[26:27], v[24:25]
	v_pk_fma_f32 v[26:27], v[62:63], s[16:17], v[44:45] neg_lo:[0,0,1] neg_hi:[0,0,1]
	v_pk_add_f32 v[76:77], v[102:103], v[76:77]
	v_mov_b32_e32 v88, v86
	v_pk_mul_f32 v[66:67], v[66:67], s[18:19]
	v_pk_add_f32 v[72:73], v[72:73], v[74:75]
	v_mov_b32_e32 v71, v85
	v_pk_fma_f32 v[68:69], v[62:63], s[22:23], v[68:69] neg_lo:[0,0,1] neg_hi:[0,0,1]
	v_mov_b32_e32 v27, v51
	v_pk_add_f32 v[76:77], v[104:105], v[76:77]
	v_pk_add_f32 v[80:81], v[88:89], v[80:81]
	v_pk_fma_f32 v[88:89], v[64:65], s[10:11], v[66:67]
	v_pk_fma_f32 v[90:91], v[64:65], s[10:11], v[66:67] neg_lo:[1,0,0] neg_hi:[1,0,0]
	v_pk_add_f32 v[70:71], v[70:71], v[72:73]
	v_mov_b32_e32 v69, v87
	v_pk_fma_f32 v[66:67], v[64:65], s[10:11], v[66:67] neg_lo:[0,0,1] neg_hi:[0,0,1]
	v_pk_add_f32 v[24:25], v[26:27], v[24:25]
	v_pk_fma_f32 v[26:27], v[64:65], s[20:21], v[120:121] neg_lo:[0,0,1] neg_hi:[0,0,1]
	v_pk_add_f32 v[76:77], v[110:111], v[76:77]
	v_mov_b32_e32 v90, v88
	v_pk_add_f32 v[68:69], v[68:69], v[70:71]
	v_mov_b32_e32 v67, v89
	v_mov_b32_e32 v27, v123
	v_pk_add_f32 v[76:77], v[112:113], v[76:77]
	v_pk_add_f32 v[80:81], v[90:91], v[80:81]
	;; [unrolled: 1-line block ×4, first 2 shown]
	ds_write2_b64 v0, v[76:77], v[80:81] offset0:4 offset1:5
	ds_write2_b64 v0, v[66:67], v[32:33] offset0:6 offset1:7
	ds_write_b64 v0, v[24:25] offset:80
.LBB0_17:
	s_or_b64 exec, exec, s[24:25]
	s_waitcnt lgkmcnt(0)
	s_barrier
	ds_read2_b64 v[26:29], v116 offset1:33
	ds_read2_b64 v[34:37], v116 offset0:66 offset1:99
	ds_read2_b64 v[38:41], v116 offset0:132 offset1:165
	ds_read_b64 v[56:57], v116 offset:1584
	v_mov_b32_e32 v61, v10
	v_mov_b32_e32 v60, v4
	s_waitcnt lgkmcnt(2)
	v_pk_mul_f32 v[44:45], v[10:11], v[34:35]
	s_waitcnt lgkmcnt(1)
	v_mul_f32_e32 v51, v55, v40
	v_mul_f32_e32 v59, v1, v41
	v_mov_b32_e32 v50, v44
	v_mov_b32_e32 v58, v45
	v_pk_mul_f32 v[42:43], v[8:9], v[28:29] op_sel:[0,1] op_sel_hi:[1,0]
	v_pk_add_f32 v[44:45], v[50:51], v[58:59]
	s_waitcnt lgkmcnt(0)
	v_pk_mul_f32 v[50:51], v[2:3], v[56:57] op_sel:[0,1] op_sel_hi:[1,0]
	v_mov_b32_e32 v58, v42
	v_mov_b32_e32 v59, v50
	;; [unrolled: 1-line block ×6, first 2 shown]
	v_pk_add_f32 v[42:43], v[58:59], v[50:51] neg_lo:[0,1] neg_hi:[0,1]
	v_mov_b32_e32 v62, v36
	v_mov_b32_e32 v63, v35
	v_pk_mul_f32 v[10:11], v[10:11], v[64:65]
	v_mov_b32_e32 v30, v29
	v_mov_b32_e32 v7, v42
	v_pk_fma_f32 v[34:35], v[4:5], v[62:63], v[10:11]
	v_pk_fma_f32 v[10:11], v[60:61], v[62:63], v[10:11] neg_lo:[0,0,1] neg_hi:[0,0,1]
	v_mov_b32_e32 v61, v4
	v_mov_b32_e32 v4, v9
	;; [unrolled: 1-line block ×3, first 2 shown]
	v_pk_add_f32 v[50:51], v[6:7], v[42:43]
	v_mov_b32_e32 v60, v8
	v_mov_b32_e32 v29, v37
	v_pk_mul_f32 v[4:5], v[4:5], v[30:31]
	v_mov_b32_e32 v7, v1
	v_mov_b32_e32 v30, v38
	;; [unrolled: 1-line block ×3, first 2 shown]
	v_pk_fma_f32 v[8:9], v[60:61], v[28:29], v[4:5]
	v_pk_fma_f32 v[4:5], v[60:61], v[28:29], v[4:5] neg_lo:[0,0,1] neg_hi:[0,0,1]
	v_mov_b32_e32 v28, v39
	v_mov_b32_e32 v29, v41
	v_pk_mul_f32 v[30:31], v[6:7], v[30:31]
	v_mov_b32_e32 v0, v57
	v_pk_fma_f32 v[36:37], v[54:55], v[28:29], v[30:31]
	v_pk_fma_f32 v[28:29], v[54:55], v[28:29], v[30:31] neg_lo:[0,0,1] neg_hi:[0,0,1]
	v_mov_b32_e32 v30, v2
	v_mov_b32_e32 v2, v3
	;; [unrolled: 1-line block ×6, first 2 shown]
	v_pk_mul_f32 v[0:1], v[2:3], v[0:1]
	v_mov_b32_e32 v50, v45
	v_pk_fma_f32 v[2:3], v[30:31], v[56:57], v[0:1]
	v_pk_fma_f32 v[0:1], v[30:31], v[56:57], v[0:1] neg_lo:[0,0,1] neg_hi:[0,0,1]
	v_mov_b32_e32 v35, v11
	v_mov_b32_e32 v9, v5
	;; [unrolled: 1-line block ×4, first 2 shown]
	v_pk_add_f32 v[58:59], v[44:45], v[50:51]
	v_mov_b32_e32 v6, v42
	v_mov_b32_e32 v7, v8
	;; [unrolled: 1-line block ×7, first 2 shown]
	v_pk_add_f32 v[28:29], v[34:35], v[36:37]
	v_pk_add_f32 v[2:3], v[8:9], v[2:3]
	v_mov_b32_e32 v0, v1
	v_mov_b32_e32 v1, v36
	;; [unrolled: 1-line block ×4, first 2 shown]
	v_pk_add_f32 v[6:7], v[6:7], v[30:31] neg_lo:[0,1] neg_hi:[0,1]
	v_pk_add_f32 v[10:11], v[10:11], v[44:45] neg_lo:[0,1] neg_hi:[0,1]
	;; [unrolled: 1-line block ×3, first 2 shown]
	v_mov_b32_e32 v59, v29
	v_mov_b32_e32 v50, v2
	v_mov_b32_e32 v8, v28
	v_mov_b32_e32 v9, v51
	v_mov_b32_e32 v30, v58
	v_mov_b32_e32 v31, v3
	s_mov_b32 s16, 0xbeae86e6
	v_pk_add_f32 v[4:5], v[58:59], v[50:51]
	v_pk_add_f32 v[8:9], v[8:9], v[30:31] neg_lo:[0,1] neg_hi:[0,1]
	v_pk_add_f32 v[30:31], v[2:3], v[28:29] neg_lo:[0,1] neg_hi:[0,1]
	v_mov_b32_e32 v36, v0
	v_mov_b32_e32 v37, v7
	;; [unrolled: 1-line block ×5, first 2 shown]
	s_mov_b32 s12, 0x3d64c772
	s_mov_b32 s17, 0x3f08b237
	v_pk_add_f32 v[34:35], v[0:1], v[10:11]
	v_pk_add_f32 v[36:37], v[36:37], v[38:39] neg_lo:[0,1] neg_hi:[0,1]
	v_mov_b32_e32 v38, v6
	v_mov_b32_e32 v1, v11
	v_pk_add_f32 v[2:3], v[28:29], v[4:5]
	s_mov_b32 s13, 0x3f4a47b2
	s_mov_b32 s18, s17
	;; [unrolled: 1-line block ×3, first 2 shown]
	v_pk_add_f32 v[0:1], v[38:39], v[0:1] neg_lo:[0,1] neg_hi:[0,1]
	v_pk_add_f32 v[28:29], v[26:27], v[2:3]
	s_mov_b32 s10, 0xbf955555
	v_pk_mul_f32 v[8:9], v[8:9], s[12:13]
	s_mov_b32 s14, s13
	s_mov_b32 s15, s12
	v_pk_mul_f32 v[36:37], v[36:37], s[18:19]
	v_pk_add_f32 v[4:5], v[34:35], v[6:7]
	s_mov_b32 s12, 0xbee1c552
	v_pk_mul_f32 v[38:39], v[0:1], s[16:17]
	v_pk_fma_f32 v[2:3], v[2:3], s[10:11], v[28:29] op_sel_hi:[1,0,1]
	v_pk_fma_f32 v[26:27], v[30:31], s[14:15], v[8:9]
	v_pk_fma_f32 v[0:1], v[0:1], s[16:17], v[36:37]
	v_pk_add_f32 v[26:27], v[26:27], v[2:3]
	v_pk_fma_f32 v[0:1], v[4:5], s[12:13], v[0:1] op_sel_hi:[1,0,1]
	v_pk_mul_f32 v[34:35], v[30:31], s[14:15]
	v_pk_add_f32 v[30:31], v[26:27], v[0:1] neg_lo:[0,1] neg_hi:[0,1]
	v_pk_add_f32 v[26:27], v[26:27], v[0:1]
	v_mov_b32_e32 v1, v31
	v_mov_b32_e32 v0, v26
	s_barrier
	ds_write2_b64 v117, v[28:29], v[0:1] offset1:11
	v_pk_add_f32 v[0:1], v[58:59], v[50:51] neg_lo:[0,1] neg_hi:[0,1]
	v_pk_add_f32 v[6:7], v[10:11], v[6:7] neg_lo:[0,1] neg_hi:[0,1]
	s_mov_b32 s10, 0x3f3bfb3b
	s_mov_b32 s14, 0xbf5ff5aa
	v_mov_b32_e32 v10, v34
	v_mov_b32_e32 v11, v9
	;; [unrolled: 1-line block ×6, first 2 shown]
	v_pk_fma_f32 v[10:11], v[0:1], s[10:11], v[10:11] op_sel_hi:[1,0,1] neg_lo:[1,0,1] neg_hi:[1,0,1]
	v_pk_fma_f32 v[28:29], v[6:7], s[14:15], v[28:29] op_sel_hi:[1,0,1] neg_lo:[1,0,1] neg_hi:[1,0,1]
	v_pk_fma_f32 v[0:1], v[0:1], s[10:11], v[8:9] op_sel_hi:[1,0,1] neg_lo:[0,0,1] neg_hi:[0,0,1]
	v_pk_fma_f32 v[6:7], v[6:7], s[14:15], v[36:37] op_sel_hi:[1,0,1] neg_lo:[0,0,1] neg_hi:[0,0,1]
	v_pk_add_f32 v[10:11], v[10:11], v[2:3]
	v_pk_fma_f32 v[28:29], v[4:5], s[12:13], v[28:29] op_sel_hi:[1,0,1]
	v_pk_add_f32 v[0:1], v[0:1], v[2:3]
	v_pk_fma_f32 v[2:3], v[4:5], s[12:13], v[6:7] op_sel_hi:[1,0,1]
	v_pk_add_f32 v[40:41], v[10:11], v[28:29]
	v_pk_add_f32 v[10:11], v[10:11], v[28:29] neg_lo:[0,1] neg_hi:[0,1]
	v_pk_add_f32 v[4:5], v[0:1], v[2:3] neg_lo:[0,1] neg_hi:[0,1]
	v_pk_add_f32 v[0:1], v[0:1], v[2:3]
	v_mov_b32_e32 v28, v40
	v_mov_b32_e32 v29, v11
	;; [unrolled: 1-line block ×7, first 2 shown]
	ds_write2_b64 v117, v[28:29], v[2:3] offset0:22 offset1:33
	ds_write2_b64 v117, v[0:1], v[10:11] offset0:44 offset1:55
	ds_write_b64 v117, v[30:31] offset:528
	s_waitcnt lgkmcnt(0)
	s_barrier
	ds_read2_b64 v[0:3], v116 offset1:33
	ds_read2_b64 v[8:11], v116 offset0:77 offset1:110
	ds_read2_b64 v[4:7], v116 offset0:154 offset1:187
	v_mov_b32_e32 v24, v20
	v_mov_b32_e32 v25, v20
	;; [unrolled: 1-line block ×6, first 2 shown]
	v_add_u32_e32 v26, 0x108, v118
	s_and_saveexec_b64 s[10:11], s[0:1]
	s_cbranch_execz .LBB0_19
; %bb.18:
	ds_read2_b64 v[30:33], v116 offset0:66 offset1:143
	ds_read_b64 v[52:53], v116 offset:1760
	s_waitcnt lgkmcnt(1)
	v_mov_b32_e32 v27, v31
.LBB0_19:
	s_or_b64 exec, exec, s[10:11]
	s_waitcnt lgkmcnt(1)
	v_pk_mul_f32 v[20:21], v[20:21], v[8:9]
	s_waitcnt lgkmcnt(0)
	v_pk_mul_f32 v[22:23], v[22:23], v[4:5]
	v_pk_fma_f32 v[38:39], v[24:25], v[8:9], v[20:21] op_sel:[0,0,1] op_sel_hi:[1,1,0]
	v_pk_fma_f32 v[8:9], v[24:25], v[8:9], v[20:21] op_sel:[0,0,1] op_sel_hi:[1,1,0] neg_lo:[0,0,1] neg_hi:[0,0,1]
	s_mov_b32 s10, 0x3f5db3d7
	v_mov_b32_e32 v39, v9
	v_pk_fma_f32 v[8:9], v[28:29], v[4:5], v[22:23] op_sel:[0,0,1] op_sel_hi:[1,1,0]
	v_pk_fma_f32 v[4:5], v[28:29], v[4:5], v[22:23] op_sel:[0,0,1] op_sel_hi:[1,1,0] neg_lo:[0,0,1] neg_hi:[0,0,1]
	v_pk_mul_f32 v[34:35], v[16:17], v[10:11] op_sel:[1,0]
	v_mov_b32_e32 v9, v5
	v_pk_add_f32 v[4:5], v[0:1], v[38:39]
	v_pk_add_f32 v[20:21], v[38:39], v[8:9]
	;; [unrolled: 1-line block ×3, first 2 shown]
	v_pk_add_f32 v[8:9], v[38:39], v[8:9] neg_lo:[0,1] neg_hi:[0,1]
	v_pk_fma_f32 v[0:1], v[20:21], 0.5, v[0:1] op_sel_hi:[1,0,1] neg_lo:[1,0,0] neg_hi:[1,0,0]
	v_pk_mul_f32 v[8:9], v[8:9], s[10:11] op_sel_hi:[1,0]
	v_pk_mul_f32 v[36:37], v[18:19], v[6:7] op_sel:[1,0]
	v_pk_add_f32 v[20:21], v[0:1], v[8:9] op_sel:[0,1] op_sel_hi:[1,0] neg_lo:[0,1] neg_hi:[0,1]
	v_pk_add_f32 v[0:1], v[0:1], v[8:9] op_sel:[0,1] op_sel_hi:[1,0]
	v_mov_b32_e32 v8, v20
	v_mov_b32_e32 v9, v1
	;; [unrolled: 1-line block ×3, first 2 shown]
	ds_write2_b64 v47, v[8:9], v[0:1] offset0:77 offset1:154
	v_pk_fma_f32 v[0:1], v[16:17], v[10:11], v[34:35] op_sel:[0,0,1] op_sel_hi:[1,1,0]
	v_pk_fma_f32 v[8:9], v[16:17], v[10:11], v[34:35] op_sel:[0,0,1] op_sel_hi:[0,1,0] neg_lo:[0,0,1] neg_hi:[0,0,1]
	v_mov_b32_e32 v1, v9
	v_pk_fma_f32 v[8:9], v[18:19], v[6:7], v[36:37] op_sel:[0,0,1] op_sel_hi:[1,1,0]
	v_pk_fma_f32 v[6:7], v[18:19], v[6:7], v[36:37] op_sel:[0,0,1] op_sel_hi:[0,1,0] neg_lo:[0,0,1] neg_hi:[0,0,1]
	v_mov_b32_e32 v9, v7
	v_pk_add_f32 v[6:7], v[2:3], v[0:1]
	s_nop 0
	v_pk_add_f32 v[6:7], v[6:7], v[8:9]
	ds_write2_b64 v47, v[4:5], v[6:7] offset1:33
	v_pk_add_f32 v[4:5], v[0:1], v[8:9]
	v_pk_add_f32 v[0:1], v[0:1], v[8:9] neg_lo:[0,1] neg_hi:[0,1]
	v_pk_fma_f32 v[2:3], v[4:5], 0.5, v[2:3] op_sel_hi:[1,0,1] neg_lo:[1,0,0] neg_hi:[1,0,0]
	v_pk_mul_f32 v[0:1], v[0:1], s[10:11] op_sel_hi:[1,0]
	s_nop 0
	v_pk_add_f32 v[4:5], v[2:3], v[0:1] op_sel:[0,1] op_sel_hi:[1,0] neg_lo:[0,1] neg_hi:[0,1]
	v_pk_add_f32 v[0:1], v[2:3], v[0:1] op_sel:[0,1] op_sel_hi:[1,0]
	v_mov_b32_e32 v2, v4
	v_mov_b32_e32 v3, v1
	;; [unrolled: 1-line block ×3, first 2 shown]
	ds_write2_b64 v26, v[2:3], v[0:1] offset0:77 offset1:154
	v_lshl_add_u32 v0, v134, 3, v49
	s_and_saveexec_b64 s[12:13], s[0:1]
	s_cbranch_execz .LBB0_21
; %bb.20:
	v_pk_mul_f32 v[2:3], v[12:13], v[32:33] op_sel:[0,1]
	v_pk_mul_f32 v[4:5], v[14:15], v[52:53] op_sel:[0,1]
	v_pk_fma_f32 v[6:7], v[12:13], v[32:33], v[2:3] op_sel:[0,0,1] op_sel_hi:[1,1,0]
	v_pk_fma_f32 v[2:3], v[12:13], v[32:33], v[2:3] op_sel:[0,0,1] op_sel_hi:[1,0,0] neg_lo:[1,0,0] neg_hi:[1,0,0]
	v_mov_b32_e32 v31, v27
	v_mov_b32_e32 v7, v3
	v_pk_fma_f32 v[2:3], v[14:15], v[52:53], v[4:5] op_sel:[0,0,1] op_sel_hi:[1,1,0]
	v_pk_fma_f32 v[4:5], v[14:15], v[52:53], v[4:5] op_sel:[0,0,1] op_sel_hi:[1,0,0] neg_lo:[1,0,0] neg_hi:[1,0,0]
	s_nop 0
	v_mov_b32_e32 v3, v5
	v_pk_add_f32 v[4:5], v[30:31], v[6:7]
	v_pk_add_f32 v[8:9], v[6:7], v[2:3]
	;; [unrolled: 1-line block ×3, first 2 shown]
	v_pk_add_f32 v[2:3], v[6:7], v[2:3] neg_lo:[0,1] neg_hi:[0,1]
	v_pk_fma_f32 v[8:9], -0.5, v[8:9], v[30:31] op_sel_hi:[0,1,1]
	v_pk_mul_f32 v[2:3], v[2:3], s[10:11] op_sel_hi:[1,0]
	s_nop 0
	v_pk_add_f32 v[6:7], v[8:9], v[2:3] op_sel:[0,1] op_sel_hi:[1,0] neg_lo:[0,1] neg_hi:[0,1]
	v_pk_add_f32 v[2:3], v[8:9], v[2:3] op_sel:[0,1] op_sel_hi:[1,0]
	v_mov_b32_e32 v8, v6
	v_mov_b32_e32 v9, v3
	;; [unrolled: 1-line block ×3, first 2 shown]
	ds_write2_b64 v0, v[4:5], v[8:9] offset0:66 offset1:143
	ds_write_b64 v0, v[2:3] offset:1760
.LBB0_21:
	s_or_b64 exec, exec, s[12:13]
	s_waitcnt lgkmcnt(0)
	s_barrier
	s_and_b64 exec, exec, vcc
	s_cbranch_execz .LBB0_23
; %bb.22:
	global_load_dwordx2 v[10:11], v49, s[2:3]
	global_load_dwordx2 v[12:13], v49, s[2:3] offset:168
	global_load_dwordx2 v[14:15], v49, s[2:3] offset:336
	;; [unrolled: 1-line block ×4, first 2 shown]
	ds_read_b64 v[24:25], v47
	ds_read2_b64 v[2:5], v0 offset0:21 offset1:42
	ds_read2_b64 v[6:9], v0 offset0:63 offset1:84
	global_load_dwordx2 v[28:29], v49, s[2:3] offset:840
	global_load_dwordx2 v[30:31], v49, s[2:3] offset:1008
	;; [unrolled: 1-line block ×3, first 2 shown]
	v_mov_b32_e32 v18, s8
	v_mov_b32_e32 v19, s9
	v_mad_u64_u32 v[26:27], s[8:9], s4, v46, 0
	v_mov_b32_e32 v36, v27
	v_mad_u64_u32 v[36:37], s[8:9], s5, v46, v[36:37]
	;; [unrolled: 2-line block ×4, first 2 shown]
	v_mov_b32_e32 v23, v34
	s_mov_b32 s0, 0x4046ed29
	v_lshl_add_u64 v[18:19], v[22:23], 3, v[18:19]
	s_mov_b32 s1, 0x3f71bb4a
	v_mov_b32_e32 v38, 0xa8
	v_lshl_add_u64 v[18:19], v[26:27], 3, v[18:19]
	s_mul_i32 s6, s5, 0xa8
	v_mad_u64_u32 v[22:23], s[8:9], s4, v38, v[18:19]
	v_add_u32_e32 v23, s6, v23
	v_mad_u64_u32 v[26:27], s[8:9], s4, v38, v[22:23]
	v_add_u32_e32 v27, s6, v27
	;; [unrolled: 2-line block ×3, first 2 shown]
	s_waitcnt vmcnt(7) lgkmcnt(2)
	v_mul_f32_e32 v1, v25, v11
	s_waitcnt vmcnt(6) lgkmcnt(1)
	v_mul_f32_e32 v36, v3, v13
	s_waitcnt vmcnt(5)
	v_mul_f32_e32 v37, v5, v15
	v_mul_f32_e32 v11, v24, v11
	;; [unrolled: 1-line block ×3, first 2 shown]
	s_waitcnt vmcnt(4) lgkmcnt(0)
	v_mul_f32_e32 v39, v7, v17
	v_mul_f32_e32 v17, v6, v17
	v_fmac_f32_e32 v36, v2, v12
	v_fmac_f32_e32 v37, v4, v14
	;; [unrolled: 1-line block ×3, first 2 shown]
	v_fma_f32 v10, v10, v25, -v11
	v_fma_f32 v11, v12, v3, -v13
	v_fmac_f32_e32 v39, v6, v16
	v_fma_f32 v24, v16, v7, -v17
	v_cvt_f64_f32_e32 v[6:7], v36
	v_cvt_f64_f32_e32 v[12:13], v37
	global_load_dwordx2 v[36:37], v49, s[2:3] offset:1344
	v_mul_f32_e32 v15, v4, v15
	v_fma_f32 v14, v14, v5, -v15
	v_cvt_f64_f32_e32 v[2:3], v1
	v_cvt_f64_f32_e32 v[4:5], v10
	v_mul_f64 v[2:3], v[2:3], s[0:1]
	v_mul_f64 v[4:5], v[4:5], s[0:1]
	v_mul_f64 v[6:7], v[6:7], s[0:1]
	v_mul_f64 v[12:13], v[12:13], s[0:1]
	v_cvt_f32_f64_e32 v2, v[2:3]
	v_cvt_f32_f64_e32 v3, v[4:5]
	;; [unrolled: 1-line block ×4, first 2 shown]
	global_load_dwordx2 v[12:13], v49, s[2:3] offset:1512
	v_cvt_f64_f32_e32 v[10:11], v11
	v_cvt_f64_f32_e32 v[14:15], v14
	;; [unrolled: 1-line block ×4, first 2 shown]
	s_waitcnt vmcnt(5)
	v_mul_f32_e32 v1, v9, v21
	v_mul_f64 v[10:11], v[10:11], s[0:1]
	v_mul_f64 v[14:15], v[14:15], s[0:1]
	;; [unrolled: 1-line block ×4, first 2 shown]
	v_fmac_f32_e32 v1, v8, v20
	v_cvt_f32_f64_e32 v5, v[10:11]
	v_cvt_f32_f64_e32 v7, v[14:15]
	;; [unrolled: 1-line block ×4, first 2 shown]
	global_store_dwordx2 v[18:19], v[2:3], off
	global_store_dwordx2 v[22:23], v[4:5], off
	;; [unrolled: 1-line block ×4, first 2 shown]
	v_cvt_f64_f32_e32 v[2:3], v1
	v_mul_f32_e32 v1, v8, v21
	v_fma_f32 v1, v20, v9, -v1
	global_load_dwordx2 v[8:9], v49, s[2:3] offset:1680
	v_mul_f64 v[2:3], v[2:3], s[0:1]
	v_cvt_f32_f64_e32 v6, v[2:3]
	v_cvt_f64_f32_e32 v[2:3], v1
	v_mul_f64 v[2:3], v[2:3], s[0:1]
	v_cvt_f32_f64_e32 v7, v[2:3]
	ds_read2_b64 v[2:5], v0 offset0:105 offset1:126
	v_mad_u64_u32 v[10:11], s[2:3], s4, v38, v[34:35]
	v_add_u32_e32 v11, s6, v11
	global_store_dwordx2 v[10:11], v[6:7], off
	s_waitcnt vmcnt(10) lgkmcnt(0)
	v_mul_f32_e32 v1, v3, v29
	v_fmac_f32_e32 v1, v2, v28
	v_cvt_f64_f32_e32 v[6:7], v1
	v_mul_f32_e32 v1, v2, v29
	v_fma_f32 v1, v28, v3, -v1
	v_cvt_f64_f32_e32 v[2:3], v1
	s_waitcnt vmcnt(9)
	v_mul_f32_e32 v1, v5, v31
	v_mul_f64 v[6:7], v[6:7], s[0:1]
	v_mul_f64 v[2:3], v[2:3], s[0:1]
	v_fmac_f32_e32 v1, v4, v30
	v_cvt_f32_f64_e32 v6, v[6:7]
	v_cvt_f32_f64_e32 v7, v[2:3]
	v_mad_u64_u32 v[10:11], s[2:3], s4, v38, v[10:11]
	v_cvt_f64_f32_e32 v[2:3], v1
	v_mul_f32_e32 v1, v4, v31
	v_add_u32_e32 v11, s6, v11
	v_mul_f64 v[2:3], v[2:3], s[0:1]
	v_fma_f32 v1, v30, v5, -v1
	global_store_dwordx2 v[10:11], v[6:7], off
	v_cvt_f32_f64_e32 v6, v[2:3]
	v_cvt_f64_f32_e32 v[2:3], v1
	v_mul_f64 v[2:3], v[2:3], s[0:1]
	v_cvt_f32_f64_e32 v7, v[2:3]
	ds_read2_b64 v[2:5], v0 offset0:147 offset1:168
	v_mad_u64_u32 v[10:11], s[2:3], s4, v38, v[10:11]
	v_add_u32_e32 v11, s6, v11
	global_store_dwordx2 v[10:11], v[6:7], off
	s_waitcnt vmcnt(10) lgkmcnt(0)
	v_mul_f32_e32 v1, v3, v33
	v_fmac_f32_e32 v1, v2, v32
	v_cvt_f64_f32_e32 v[6:7], v1
	v_mul_f32_e32 v1, v2, v33
	v_fma_f32 v1, v32, v3, -v1
	v_cvt_f64_f32_e32 v[2:3], v1
	v_mul_f64 v[6:7], v[6:7], s[0:1]
	v_mul_f64 v[2:3], v[2:3], s[0:1]
	s_waitcnt vmcnt(9)
	v_mul_f32_e32 v1, v5, v37
	v_fmac_f32_e32 v1, v4, v36
	v_cvt_f32_f64_e32 v6, v[6:7]
	v_cvt_f32_f64_e32 v7, v[2:3]
	v_mad_u64_u32 v[10:11], s[2:3], s4, v38, v[10:11]
	v_cvt_f64_f32_e32 v[2:3], v1
	v_mul_f32_e32 v1, v4, v37
	v_add_u32_e32 v11, s6, v11
	v_mul_f64 v[2:3], v[2:3], s[0:1]
	v_fma_f32 v1, v36, v5, -v1
	global_store_dwordx2 v[10:11], v[6:7], off
	v_cvt_f32_f64_e32 v6, v[2:3]
	v_cvt_f64_f32_e32 v[2:3], v1
	v_mul_f64 v[2:3], v[2:3], s[0:1]
	v_cvt_f32_f64_e32 v7, v[2:3]
	ds_read2_b64 v[0:3], v0 offset0:189 offset1:210
	v_mad_u64_u32 v[4:5], s[2:3], s4, v38, v[10:11]
	v_add_u32_e32 v5, s6, v5
	global_store_dwordx2 v[4:5], v[6:7], off
	s_waitcnt vmcnt(10) lgkmcnt(0)
	v_mul_f32_e32 v6, v1, v13
	v_fmac_f32_e32 v6, v0, v12
	v_mul_f32_e32 v0, v0, v13
	v_fma_f32 v0, v12, v1, -v0
	v_cvt_f64_f32_e32 v[6:7], v6
	v_cvt_f64_f32_e32 v[0:1], v0
	v_mul_f64 v[6:7], v[6:7], s[0:1]
	v_mul_f64 v[0:1], v[0:1], s[0:1]
	v_cvt_f32_f64_e32 v6, v[6:7]
	v_cvt_f32_f64_e32 v7, v[0:1]
	v_mad_u64_u32 v[0:1], s[2:3], s4, v38, v[4:5]
	s_waitcnt vmcnt(5)
	v_mul_f32_e32 v4, v3, v9
	v_fmac_f32_e32 v4, v2, v8
	v_mul_f32_e32 v2, v2, v9
	v_fma_f32 v2, v8, v3, -v2
	v_add_u32_e32 v1, s6, v1
	v_cvt_f64_f32_e32 v[4:5], v4
	v_cvt_f64_f32_e32 v[2:3], v2
	global_store_dwordx2 v[0:1], v[6:7], off
	v_mul_f64 v[4:5], v[4:5], s[0:1]
	v_mul_f64 v[2:3], v[2:3], s[0:1]
	v_mad_u64_u32 v[0:1], s[0:1], s4, v38, v[0:1]
	v_cvt_f32_f64_e32 v4, v[4:5]
	v_cvt_f32_f64_e32 v5, v[2:3]
	v_add_u32_e32 v1, s6, v1
	global_store_dwordx2 v[0:1], v[4:5], off
.LBB0_23:
	s_endpgm
	.section	.rodata,"a",@progbits
	.p2align	6, 0x0
	.amdhsa_kernel bluestein_single_back_len231_dim1_sp_op_CI_CI
		.amdhsa_group_segment_fixed_size 12936
		.amdhsa_private_segment_fixed_size 0
		.amdhsa_kernarg_size 104
		.amdhsa_user_sgpr_count 2
		.amdhsa_user_sgpr_dispatch_ptr 0
		.amdhsa_user_sgpr_queue_ptr 0
		.amdhsa_user_sgpr_kernarg_segment_ptr 1
		.amdhsa_user_sgpr_dispatch_id 0
		.amdhsa_user_sgpr_kernarg_preload_length 0
		.amdhsa_user_sgpr_kernarg_preload_offset 0
		.amdhsa_user_sgpr_private_segment_size 0
		.amdhsa_uses_dynamic_stack 0
		.amdhsa_enable_private_segment 0
		.amdhsa_system_sgpr_workgroup_id_x 1
		.amdhsa_system_sgpr_workgroup_id_y 0
		.amdhsa_system_sgpr_workgroup_id_z 0
		.amdhsa_system_sgpr_workgroup_info 0
		.amdhsa_system_vgpr_workitem_id 0
		.amdhsa_next_free_vgpr 146
		.amdhsa_next_free_sgpr 46
		.amdhsa_accum_offset 148
		.amdhsa_reserve_vcc 1
		.amdhsa_float_round_mode_32 0
		.amdhsa_float_round_mode_16_64 0
		.amdhsa_float_denorm_mode_32 3
		.amdhsa_float_denorm_mode_16_64 3
		.amdhsa_dx10_clamp 1
		.amdhsa_ieee_mode 1
		.amdhsa_fp16_overflow 0
		.amdhsa_tg_split 0
		.amdhsa_exception_fp_ieee_invalid_op 0
		.amdhsa_exception_fp_denorm_src 0
		.amdhsa_exception_fp_ieee_div_zero 0
		.amdhsa_exception_fp_ieee_overflow 0
		.amdhsa_exception_fp_ieee_underflow 0
		.amdhsa_exception_fp_ieee_inexact 0
		.amdhsa_exception_int_div_zero 0
	.end_amdhsa_kernel
	.text
.Lfunc_end0:
	.size	bluestein_single_back_len231_dim1_sp_op_CI_CI, .Lfunc_end0-bluestein_single_back_len231_dim1_sp_op_CI_CI
                                        ; -- End function
	.section	.AMDGPU.csdata,"",@progbits
; Kernel info:
; codeLenInByte = 9432
; NumSgprs: 52
; NumVgprs: 146
; NumAgprs: 0
; TotalNumVgprs: 146
; ScratchSize: 0
; MemoryBound: 0
; FloatMode: 240
; IeeeMode: 1
; LDSByteSize: 12936 bytes/workgroup (compile time only)
; SGPRBlocks: 6
; VGPRBlocks: 18
; NumSGPRsForWavesPerEU: 52
; NumVGPRsForWavesPerEU: 146
; AccumOffset: 148
; Occupancy: 3
; WaveLimiterHint : 1
; COMPUTE_PGM_RSRC2:SCRATCH_EN: 0
; COMPUTE_PGM_RSRC2:USER_SGPR: 2
; COMPUTE_PGM_RSRC2:TRAP_HANDLER: 0
; COMPUTE_PGM_RSRC2:TGID_X_EN: 1
; COMPUTE_PGM_RSRC2:TGID_Y_EN: 0
; COMPUTE_PGM_RSRC2:TGID_Z_EN: 0
; COMPUTE_PGM_RSRC2:TIDIG_COMP_CNT: 0
; COMPUTE_PGM_RSRC3_GFX90A:ACCUM_OFFSET: 36
; COMPUTE_PGM_RSRC3_GFX90A:TG_SPLIT: 0
	.text
	.p2alignl 6, 3212836864
	.fill 256, 4, 3212836864
	.type	__hip_cuid_f17a6f207a71667b,@object ; @__hip_cuid_f17a6f207a71667b
	.section	.bss,"aw",@nobits
	.globl	__hip_cuid_f17a6f207a71667b
__hip_cuid_f17a6f207a71667b:
	.byte	0                               ; 0x0
	.size	__hip_cuid_f17a6f207a71667b, 1

	.ident	"AMD clang version 19.0.0git (https://github.com/RadeonOpenCompute/llvm-project roc-6.4.0 25133 c7fe45cf4b819c5991fe208aaa96edf142730f1d)"
	.section	".note.GNU-stack","",@progbits
	.addrsig
	.addrsig_sym __hip_cuid_f17a6f207a71667b
	.amdgpu_metadata
---
amdhsa.kernels:
  - .agpr_count:     0
    .args:
      - .actual_access:  read_only
        .address_space:  global
        .offset:         0
        .size:           8
        .value_kind:     global_buffer
      - .actual_access:  read_only
        .address_space:  global
        .offset:         8
        .size:           8
        .value_kind:     global_buffer
      - .actual_access:  read_only
        .address_space:  global
        .offset:         16
        .size:           8
        .value_kind:     global_buffer
      - .actual_access:  read_only
        .address_space:  global
        .offset:         24
        .size:           8
        .value_kind:     global_buffer
      - .actual_access:  read_only
        .address_space:  global
        .offset:         32
        .size:           8
        .value_kind:     global_buffer
      - .offset:         40
        .size:           8
        .value_kind:     by_value
      - .address_space:  global
        .offset:         48
        .size:           8
        .value_kind:     global_buffer
      - .address_space:  global
        .offset:         56
        .size:           8
        .value_kind:     global_buffer
      - .address_space:  global
        .offset:         64
        .size:           8
        .value_kind:     global_buffer
      - .address_space:  global
        .offset:         72
        .size:           8
        .value_kind:     global_buffer
      - .offset:         80
        .size:           4
        .value_kind:     by_value
      - .address_space:  global
        .offset:         88
        .size:           8
        .value_kind:     global_buffer
      - .address_space:  global
        .offset:         96
        .size:           8
        .value_kind:     global_buffer
    .group_segment_fixed_size: 12936
    .kernarg_segment_align: 8
    .kernarg_segment_size: 104
    .language:       OpenCL C
    .language_version:
      - 2
      - 0
    .max_flat_workgroup_size: 231
    .name:           bluestein_single_back_len231_dim1_sp_op_CI_CI
    .private_segment_fixed_size: 0
    .sgpr_count:     52
    .sgpr_spill_count: 0
    .symbol:         bluestein_single_back_len231_dim1_sp_op_CI_CI.kd
    .uniform_work_group_size: 1
    .uses_dynamic_stack: false
    .vgpr_count:     146
    .vgpr_spill_count: 0
    .wavefront_size: 64
amdhsa.target:   amdgcn-amd-amdhsa--gfx950
amdhsa.version:
  - 1
  - 2
...

	.end_amdgpu_metadata
